;; amdgpu-corpus repo=ROCm/rocFFT kind=compiled arch=gfx1030 opt=O3
	.text
	.amdgcn_target "amdgcn-amd-amdhsa--gfx1030"
	.amdhsa_code_object_version 6
	.protected	bluestein_single_fwd_len1260_dim1_dp_op_CI_CI ; -- Begin function bluestein_single_fwd_len1260_dim1_dp_op_CI_CI
	.globl	bluestein_single_fwd_len1260_dim1_dp_op_CI_CI
	.p2align	8
	.type	bluestein_single_fwd_len1260_dim1_dp_op_CI_CI,@function
bluestein_single_fwd_len1260_dim1_dp_op_CI_CI: ; @bluestein_single_fwd_len1260_dim1_dp_op_CI_CI
; %bb.0:
	s_load_dwordx4 s[8:11], s[4:5], 0x28
	v_mul_u32_u24_e32 v1, 0x411, v0
	s_mov_b64 s[38:39], s[2:3]
	s_mov_b64 s[36:37], s[0:1]
	v_mov_b32_e32 v3, 0
	s_add_u32 s36, s36, s7
	v_lshrrev_b32_e32 v1, 16, v1
	s_addc_u32 s37, s37, 0
	s_mov_b32 s0, exec_lo
	v_add_nc_u32_e32 v2, s6, v1
	s_waitcnt lgkmcnt(0)
	v_cmpx_gt_u64_e64 s[8:9], v[2:3]
	s_cbranch_execz .LBB0_26
; %bb.1:
	s_clause 0x1
	s_load_dwordx4 s[0:3], s[4:5], 0x18
	s_load_dwordx4 s[12:15], s[4:5], 0x0
	v_mul_lo_u16 v1, v1, 63
	v_mov_b32_e32 v13, v2
	v_sub_nc_u16 v93, v0, v1
	v_mov_b32_e32 v12, v13
	v_and_b32_e32 v177, 0xffff, v93
	v_lshlrev_b32_e32 v176, 4, v177
	v_add_co_u32 v90, null, 0x17a, v177
	s_waitcnt lgkmcnt(0)
	s_load_dwordx4 s[16:19], s[0:1], 0x0
	s_clause 0x2
	global_load_dwordx4 v[118:121], v176, s[12:13]
	global_load_dwordx4 v[129:132], v176, s[12:13] offset:1008
	global_load_dwordx4 v[122:125], v176, s[12:13] offset:2016
	v_add_co_u32 v72, s0, s12, v176
	v_add_co_ci_u32_e64 v73, null, s13, 0, s0
	v_lshlrev_b32_e32 v174, 5, v177
	v_add_co_u32 v76, vcc_lo, 0x2000, v72
	v_add_co_ci_u32_e32 v77, vcc_lo, 0, v73, vcc_lo
	v_add_co_u32 v0, vcc_lo, 0x2800, v72
	v_add_co_ci_u32_e32 v1, vcc_lo, 0, v73, vcc_lo
	;; [unrolled: 2-line block ×3, first 2 shown]
	s_waitcnt lgkmcnt(0)
	v_mad_u64_u32 v[2:3], null, s18, v13, 0
	buffer_store_dword v12, off, s[36:39], 0 ; 4-byte Folded Spill
	buffer_store_dword v13, off, s[36:39], 0 offset:4 ; 4-byte Folded Spill
	v_mad_u64_u32 v[6:7], null, s16, v177, 0
	v_add_co_u32 v8, vcc_lo, 0x3000, v72
	v_add_co_ci_u32_e32 v9, vcc_lo, 0, v73, vcc_lo
	v_add_co_u32 v10, vcc_lo, 0x1000, v72
	v_mad_u64_u32 v[15:16], null, s17, v177, v[7:8]
	s_clause 0x2
	global_load_dwordx4 v[206:209], v[76:77], off offset:1888
	global_load_dwordx4 v[202:205], v[0:1], off offset:848
	;; [unrolled: 1-line block ×3, first 2 shown]
	v_add_co_ci_u32_e32 v11, vcc_lo, 0, v73, vcc_lo
	s_mul_i32 s1, s17, 0x2760
	s_mul_hi_u32 s7, s16, 0x2760
	s_mul_i32 s0, s16, 0x2760
	v_mov_b32_e32 v7, v15
	s_add_i32 s1, s7, s1
	s_clause 0x5
	global_load_dwordx4 v[178:181], v[4:5], off offset:976
	global_load_dwordx4 v[166:169], v[4:5], off offset:1984
	global_load_dwordx4 v[182:185], v[8:9], off offset:816
	global_load_dwordx4 v[170:173], v[8:9], off offset:1824
	global_load_dwordx4 v[154:157], v[10:11], off offset:944
	global_load_dwordx4 v[138:141], v[10:11], off offset:1952
	s_mul_hi_u32 s9, s16, 0xffffdc90
	s_mul_i32 s8, s17, 0xffffdc90
	s_mul_i32 s6, s16, 0xffffdc90
	s_sub_i32 s7, s9, s16
	v_lshlrev_b32_e32 v211, 5, v90
	s_add_i32 s7, s7, s8
	v_mad_u64_u32 v[12:13], null, s19, v13, v[3:4]
	v_add_co_u32 v13, vcc_lo, 0x3800, v72
	v_add_co_ci_u32_e32 v14, vcc_lo, 0, v73, vcc_lo
	s_clause 0x1
	global_load_dwordx4 v[162:165], v[13:14], off offset:784
	global_load_dwordx4 v[142:145], v[13:14], off offset:1792
	v_mov_b32_e32 v3, v12
	v_lshlrev_b64 v[0:1], 4, v[2:3]
	v_lshlrev_b64 v[2:3], 4, v[6:7]
	v_add_co_u32 v0, vcc_lo, s10, v0
	v_add_co_ci_u32_e32 v1, vcc_lo, s11, v1, vcc_lo
	v_add_co_u32 v0, vcc_lo, v0, v2
	v_add_co_ci_u32_e32 v1, vcc_lo, v1, v3, vcc_lo
	;; [unrolled: 2-line block ×3, first 2 shown]
	s_clause 0x1
	global_load_dwordx4 v[40:43], v[0:1], off
	global_load_dwordx4 v[32:35], v[2:3], off
	v_add_co_u32 v6, vcc_lo, v2, s6
	v_add_co_ci_u32_e32 v7, vcc_lo, s7, v3, vcc_lo
	v_add_co_u32 v4, vcc_lo, v6, s0
	v_add_co_ci_u32_e32 v5, vcc_lo, s1, v7, vcc_lo
	s_clause 0x1
	global_load_dwordx4 v[24:27], v[6:7], off
	global_load_dwordx4 v[16:19], v[4:5], off
	v_add_co_u32 v8, vcc_lo, v4, s6
	v_add_co_ci_u32_e32 v9, vcc_lo, s7, v5, vcc_lo
	v_add_co_u32 v10, vcc_lo, v8, s0
	v_add_co_ci_u32_e32 v11, vcc_lo, s1, v9, vcc_lo
	global_load_dwordx4 v[28:31], v[8:9], off
	v_add_co_u32 v12, vcc_lo, v10, s6
	v_add_co_ci_u32_e32 v13, vcc_lo, s7, v11, vcc_lo
	global_load_dwordx4 v[20:23], v[10:11], off
	;; [unrolled: 3-line block ×6, first 2 shown]
	v_add_co_u32 v44, vcc_lo, v38, s0
	v_add_co_ci_u32_e32 v45, vcc_lo, s1, v39, vcc_lo
	v_add_co_u32 v46, vcc_lo, v44, s6
	v_add_co_ci_u32_e32 v47, vcc_lo, s7, v45, vcc_lo
	;; [unrolled: 2-line block ×4, first 2 shown]
	global_load_dwordx4 v[56:59], v[38:39], off
	global_load_dwordx4 v[52:55], v[44:45], off
	;; [unrolled: 1-line block ×5, first 2 shown]
	v_add_co_u32 v64, vcc_lo, v60, s0
	v_add_co_ci_u32_e32 v65, vcc_lo, s1, v61, vcc_lo
	v_add_co_u32 v68, vcc_lo, 0x1800, v72
	v_add_co_ci_u32_e32 v69, vcc_lo, 0, v73, vcc_lo
	global_load_dwordx4 v[60:63], v[64:65], off
	v_add_co_u32 v64, vcc_lo, v64, s6
	v_add_co_ci_u32_e32 v65, vcc_lo, s7, v65, vcc_lo
	v_add_co_u32 v74, vcc_lo, 0x4000, v72
	v_add_co_ci_u32_e32 v75, vcc_lo, 0, v73, vcc_lo
	;; [unrolled: 2-line block ×3, first 2 shown]
	global_load_dwordx4 v[150:153], v[74:75], off offset:752
	global_load_dwordx4 v[64:67], v[64:65], off
	s_clause 0x1
	global_load_dwordx4 v[158:161], v[68:69], off offset:912
	global_load_dwordx4 v[146:149], v[68:69], off offset:1920
	global_load_dwordx4 v[68:71], v[78:79], off
	v_add_co_u32 v78, vcc_lo, v78, s6
	v_add_co_ci_u32_e32 v79, vcc_lo, s7, v79, vcc_lo
	v_add_co_u32 v80, vcc_lo, 0x4800, v72
	v_add_co_ci_u32_e32 v81, vcc_lo, 0, v73, vcc_lo
	;; [unrolled: 2-line block ×3, first 2 shown]
	global_load_dwordx4 v[186:189], v[74:75], off offset:1760
	global_load_dwordx4 v[72:75], v[78:79], off
	s_clause 0x1
	global_load_dwordx4 v[190:193], v[76:77], off offset:880
	global_load_dwordx4 v[194:197], v[80:81], off offset:720
	global_load_dwordx4 v[76:79], v[82:83], off
	s_load_dwordx4 s[8:11], s[2:3], 0x0
	v_add_co_u32 v89, s0, v177, 63
	v_add_co_ci_u32_e64 v80, null, 0, 0, s0
	v_add_co_u32 v128, s0, 0x7e, v177
	v_add_co_ci_u32_e64 v80, null, 0, 0, s0
	;; [unrolled: 2-line block ×4, first 2 shown]
	v_add_co_u32 v91, s0, 0x13b, v177
	v_lshlrev_b32_e32 v82, 1, v177
	v_add_co_ci_u32_e64 v80, null, 0, 0, s0
	v_add_nc_u32_e32 v80, 0x1b9, v177
	v_add_nc_u32_e32 v81, 0x237, v177
	;; [unrolled: 1-line block ×3, first 2 shown]
	v_lshlrev_b32_e32 v216, 5, v89
	v_and_b32_e32 v83, 1, v177
	v_lshlrev_b32_e32 v215, 5, v128
	v_lshlrev_b32_e32 v214, 5, v88
	;; [unrolled: 1-line block ×8, first 2 shown]
	s_load_dwordx2 s[2:3], s[4:5], 0x38
	v_cmp_gt_u16_e32 vcc_lo, 42, v93
	s_waitcnt vmcnt(25)
	v_mul_f64 v[84:85], v[42:43], v[120:121]
	s_waitcnt vmcnt(24)
	v_mul_f64 v[94:95], v[34:35], v[208:209]
	v_mul_f64 v[86:87], v[40:41], v[120:121]
	;; [unrolled: 1-line block ×3, first 2 shown]
	s_waitcnt vmcnt(23)
	v_mul_f64 v[98:99], v[26:27], v[131:132]
	s_waitcnt vmcnt(22)
	v_mul_f64 v[102:103], v[18:19], v[204:205]
	v_mul_f64 v[100:101], v[24:25], v[131:132]
	;; [unrolled: 1-line block ×3, first 2 shown]
	v_fma_f64 v[40:41], v[40:41], v[118:119], v[84:85]
	buffer_store_dword v118, off, s[36:39], 0 offset:8 ; 4-byte Folded Spill
	buffer_store_dword v119, off, s[36:39], 0 offset:12 ; 4-byte Folded Spill
	;; [unrolled: 1-line block ×4, first 2 shown]
	v_fma_f64 v[32:33], v[32:33], v[206:207], v[94:95]
	buffer_store_dword v206, off, s[36:39], 0 offset:312 ; 4-byte Folded Spill
	buffer_store_dword v207, off, s[36:39], 0 offset:316 ; 4-byte Folded Spill
	;; [unrolled: 1-line block ×4, first 2 shown]
	s_waitcnt vmcnt(21)
	v_mul_f64 v[106:107], v[30:31], v[124:125]
	v_mul_f64 v[108:109], v[28:29], v[124:125]
	s_waitcnt vmcnt(20)
	v_mul_f64 v[110:111], v[22:23], v[200:201]
	v_mul_f64 v[112:113], v[20:21], v[200:201]
	s_waitcnt vmcnt(19)
	v_mul_f64 v[114:115], v[14:15], v[180:181]
	v_fma_f64 v[24:25], v[24:25], v[129:130], v[98:99]
	buffer_store_dword v129, off, s[36:39], 0 offset:56 ; 4-byte Folded Spill
	buffer_store_dword v130, off, s[36:39], 0 offset:60 ; 4-byte Folded Spill
	;; [unrolled: 1-line block ×4, first 2 shown]
	v_fma_f64 v[16:17], v[16:17], v[202:203], v[102:103]
	buffer_store_dword v202, off, s[36:39], 0 offset:296 ; 4-byte Folded Spill
	buffer_store_dword v203, off, s[36:39], 0 offset:300 ; 4-byte Folded Spill
	;; [unrolled: 1-line block ×4, first 2 shown]
	s_waitcnt vmcnt(18)
	v_mul_f64 v[84:85], v[10:11], v[184:185]
	v_mul_f64 v[116:117], v[12:13], v[180:181]
	s_waitcnt vmcnt(17)
	v_mul_f64 v[94:95], v[6:7], v[168:169]
	v_fma_f64 v[28:29], v[28:29], v[122:123], v[106:107]
	buffer_store_dword v122, off, s[36:39], 0 offset:40 ; 4-byte Folded Spill
	buffer_store_dword v123, off, s[36:39], 0 offset:44 ; 4-byte Folded Spill
	;; [unrolled: 1-line block ×4, first 2 shown]
	v_fma_f64 v[20:21], v[20:21], v[198:199], v[110:111]
	buffer_store_dword v198, off, s[36:39], 0 offset:280 ; 4-byte Folded Spill
	buffer_store_dword v199, off, s[36:39], 0 offset:284 ; 4-byte Folded Spill
	;; [unrolled: 1-line block ×4, first 2 shown]
	s_waitcnt vmcnt(16)
	v_mul_f64 v[98:99], v[2:3], v[172:173]
	v_fma_f64 v[12:13], v[12:13], v[178:179], v[114:115]
	buffer_store_dword v178, off, s[36:39], 0 offset:200 ; 4-byte Folded Spill
	buffer_store_dword v179, off, s[36:39], 0 offset:204 ; 4-byte Folded Spill
	;; [unrolled: 1-line block ×4, first 2 shown]
	s_waitcnt vmcnt(15)
	v_mul_f64 v[102:103], v[58:59], v[156:157]
	s_waitcnt vmcnt(14)
	v_mul_f64 v[106:107], v[54:55], v[164:165]
	;; [unrolled: 2-line block ×8, first 2 shown]
	v_mul_f64 v[133:134], v[76:77], v[196:197]
	v_fma_f64 v[76:77], v[76:77], v[194:195], v[131:132]
	v_fma_f64 v[42:43], v[42:43], v[118:119], -v[86:87]
	v_mul_f64 v[86:87], v[8:9], v[184:185]
	v_fma_f64 v[8:9], v[8:9], v[182:183], v[84:85]
	buffer_store_dword v182, off, s[36:39], 0 offset:216 ; 4-byte Folded Spill
	buffer_store_dword v183, off, s[36:39], 0 offset:220 ; 4-byte Folded Spill
	;; [unrolled: 1-line block ×4, first 2 shown]
	v_fma_f64 v[34:35], v[34:35], v[206:207], -v[96:97]
	v_mul_f64 v[96:97], v[4:5], v[168:169]
	v_fma_f64 v[4:5], v[4:5], v[166:167], v[94:95]
	buffer_store_dword v166, off, s[36:39], 0 offset:168 ; 4-byte Folded Spill
	buffer_store_dword v167, off, s[36:39], 0 offset:172 ; 4-byte Folded Spill
	buffer_store_dword v168, off, s[36:39], 0 offset:176 ; 4-byte Folded Spill
	buffer_store_dword v169, off, s[36:39], 0 offset:180 ; 4-byte Folded Spill
	v_mul_f64 v[84:85], v[46:47], v[140:141]
	v_mul_f64 v[94:95], v[38:39], v[144:145]
	;; [unrolled: 1-line block ×3, first 2 shown]
	v_fma_f64 v[26:27], v[26:27], v[129:130], -v[100:101]
	v_mul_f64 v[100:101], v[0:1], v[172:173]
	v_fma_f64 v[0:1], v[0:1], v[170:171], v[98:99]
	buffer_store_dword v170, off, s[36:39], 0 offset:184 ; 4-byte Folded Spill
	buffer_store_dword v171, off, s[36:39], 0 offset:188 ; 4-byte Folded Spill
	;; [unrolled: 1-line block ×4, first 2 shown]
	v_fma_f64 v[18:19], v[18:19], v[202:203], -v[104:105]
	v_mul_f64 v[104:105], v[56:57], v[156:157]
	v_fma_f64 v[56:57], v[56:57], v[154:155], v[102:103]
	buffer_store_dword v154, off, s[36:39], 0 offset:120 ; 4-byte Folded Spill
	buffer_store_dword v155, off, s[36:39], 0 offset:124 ; 4-byte Folded Spill
	;; [unrolled: 1-line block ×4, first 2 shown]
	v_mul_f64 v[129:130], v[72:73], v[192:193]
	v_fma_f64 v[72:73], v[72:73], v[190:191], v[126:127]
	v_fma_f64 v[30:31], v[30:31], v[122:123], -v[108:109]
	v_mul_f64 v[122:123], v[70:71], v[188:189]
	v_mul_f64 v[108:109], v[52:53], v[164:165]
	v_fma_f64 v[52:53], v[52:53], v[162:163], v[106:107]
	buffer_store_dword v162, off, s[36:39], 0 offset:152 ; 4-byte Folded Spill
	buffer_store_dword v163, off, s[36:39], 0 offset:156 ; 4-byte Folded Spill
	;; [unrolled: 1-line block ×4, first 2 shown]
	v_fma_f64 v[22:23], v[22:23], v[198:199], -v[112:113]
	v_mul_f64 v[112:113], v[48:49], v[160:161]
	v_fma_f64 v[48:49], v[48:49], v[158:159], v[110:111]
	v_fma_f64 v[14:15], v[14:15], v[178:179], -v[116:117]
	v_mul_f64 v[116:117], v[60:61], v[152:153]
	v_fma_f64 v[60:61], v[60:61], v[150:151], v[114:115]
	v_fma_f64 v[64:65], v[64:65], v[146:147], v[118:119]
	;; [unrolled: 1-line block ×3, first 2 shown]
	v_and_or_b32 v123, 0x7fc, v135, v83
	v_fma_f64 v[10:11], v[10:11], v[182:183], -v[86:87]
	v_mul_f64 v[86:87], v[44:45], v[140:141]
	v_fma_f64 v[44:45], v[44:45], v[138:139], v[84:85]
	buffer_store_dword v138, off, s[36:39], 0 offset:24 ; 4-byte Folded Spill
	buffer_store_dword v139, off, s[36:39], 0 offset:28 ; 4-byte Folded Spill
	;; [unrolled: 1-line block ×4, first 2 shown]
	v_fma_f64 v[6:7], v[6:7], v[166:167], -v[96:97]
	v_mul_f64 v[96:97], v[36:37], v[144:145]
	v_fma_f64 v[36:37], v[36:37], v[142:143], v[94:95]
	buffer_store_dword v142, off, s[36:39], 0 offset:72 ; 4-byte Folded Spill
	buffer_store_dword v143, off, s[36:39], 0 offset:76 ; 4-byte Folded Spill
	;; [unrolled: 1-line block ×28, first 2 shown]
	v_fma_f64 v[2:3], v[2:3], v[170:171], -v[100:101]
	v_and_b32_e32 v95, 1, v88
	v_fma_f64 v[58:59], v[58:59], v[154:155], -v[104:105]
	v_and_b32_e32 v94, 1, v81
	v_lshlrev_b32_e32 v84, 4, v135
	v_fma_f64 v[54:55], v[54:55], v[162:163], -v[108:109]
	v_fma_f64 v[46:47], v[46:47], v[138:139], -v[86:87]
	;; [unrolled: 1-line block ×9, first 2 shown]
	ds_write_b128 v176, v[40:43]
	ds_write_b128 v176, v[32:35] offset:10080
	ds_write_b128 v176, v[24:27] offset:1008
	ds_write_b128 v176, v[16:19] offset:11088
	ds_write_b128 v176, v[28:31] offset:2016
	ds_write_b128 v176, v[20:23] offset:12096
	ds_write_b128 v176, v[12:15] offset:3024
	ds_write_b128 v176, v[8:11] offset:13104
	ds_write_b128 v176, v[4:7] offset:4032
	ds_write_b128 v176, v[0:3] offset:14112
	ds_write_b128 v176, v[56:59] offset:5040
	ds_write_b128 v176, v[52:55] offset:15120
	ds_write_b128 v176, v[44:47] offset:6048
	ds_write_b128 v176, v[36:39] offset:16128
	ds_write_b128 v176, v[48:51] offset:7056
	ds_write_b128 v176, v[60:63] offset:17136
	ds_write_b128 v176, v[64:67] offset:8064
	ds_write_b128 v176, v[68:71] offset:18144
	ds_write_b128 v176, v[72:75] offset:9072
	ds_write_b128 v176, v[76:79] offset:19152
	s_waitcnt lgkmcnt(0)
	s_waitcnt_vscnt null, 0x0
	s_barrier
	buffer_gl0_inv
	ds_read_b128 v[0:3], v176 offset:10080
	ds_read_b128 v[4:7], v176
	ds_read_b128 v[8:11], v176 offset:1008
	ds_read_b128 v[12:15], v176 offset:11088
	;; [unrolled: 1-line block ×18, first 2 shown]
	v_and_b32_e32 v96, 1, v91
	s_waitcnt lgkmcnt(18)
	v_add_f64 v[0:1], v[4:5], -v[0:1]
	v_add_f64 v[2:3], v[6:7], -v[2:3]
	s_waitcnt lgkmcnt(16)
	v_add_f64 v[12:13], v[8:9], -v[12:13]
	v_add_f64 v[14:15], v[10:11], -v[14:15]
	;; [unrolled: 3-line block ×10, first 2 shown]
	s_barrier
	v_fma_f64 v[4:5], v[4:5], 2.0, -v[0:1]
	v_fma_f64 v[6:7], v[6:7], 2.0, -v[2:3]
	;; [unrolled: 1-line block ×20, first 2 shown]
	buffer_gl0_inv
	ds_write_b128 v174, v[0:3] offset:16
	ds_write_b128 v174, v[4:7]
	ds_write_b128 v216, v[8:11]
	v_lshlrev_b32_e32 v0, 4, v95
	v_and_b32_e32 v1, 1, v80
	v_lshlrev_b32_e32 v2, 4, v96
	v_lshlrev_b32_e32 v97, 4, v94
	buffer_store_dword v216, off, s[36:39], 0 offset:476 ; 4-byte Folded Spill
	ds_write_b128 v216, v[12:15] offset:16
	ds_write_b128 v215, v[20:23]
	buffer_store_dword v215, off, s[36:39], 0 offset:472 ; 4-byte Folded Spill
	ds_write_b128 v215, v[16:19] offset:16
	ds_write_b128 v214, v[24:27]
	buffer_store_dword v214, off, s[36:39], 0 offset:468 ; 4-byte Folded Spill
	ds_write_b128 v214, v[28:31] offset:16
	ds_write_b128 v213, v[36:39]
	buffer_store_dword v213, off, s[36:39], 0 offset:464 ; 4-byte Folded Spill
	ds_write_b128 v213, v[32:35] offset:16
	ds_write_b128 v212, v[40:43]
	buffer_store_dword v212, off, s[36:39], 0 offset:460 ; 4-byte Folded Spill
	ds_write_b128 v212, v[44:47] offset:16
	ds_write_b128 v211, v[52:55]
	buffer_store_dword v211, off, s[36:39], 0 offset:456 ; 4-byte Folded Spill
	ds_write_b128 v211, v[48:51] offset:16
	ds_write_b128 v174, v[56:59] offset:14112
	buffer_store_dword v210, off, s[36:39], 0 offset:452 ; 4-byte Folded Spill
	ds_write_b128 v210, v[60:63] offset:16
	ds_write_b128 v136, v[68:71] offset:16128
	;; [unrolled: 3-line block ×3, first 2 shown]
	buffer_store_dword v175, off, s[36:39], 0 offset:448 ; 4-byte Folded Spill
	ds_write_b128 v175, v[76:79] offset:16
	s_waitcnt lgkmcnt(0)
	s_waitcnt_vscnt null, 0x0
	s_barrier
	buffer_gl0_inv
	s_clause 0x1
	global_load_dwordx4 v[144:147], v0, s[14:15]
	global_load_dwordx4 v[140:143], v2, s[14:15]
	v_lshlrev_b32_e32 v0, 4, v1
	s_clause 0x3
	global_load_dwordx4 v[84:87], v137, s[14:15]
	global_load_dwordx4 v[129:132], v97, s[14:15]
	;; [unrolled: 1-line block ×3, first 2 shown]
	global_load_dwordx2 v[64:65], v97, s[14:15] offset:8
	v_and_b32_e32 v2, 1, v89
	v_lshlrev_b32_e32 v3, 1, v128
	v_lshlrev_b32_e32 v4, 1, v88
	;; [unrolled: 1-line block ×6, first 2 shown]
	v_and_or_b32 v6, 0x7c, v82, v83
	v_lshlrev_b32_e32 v9, 1, v80
	v_lshlrev_b32_e32 v10, 1, v81
	global_load_dwordx2 v[149:150], v0, s[14:15]
	v_lshlrev_b32_e32 v0, 1, v89
	v_and_or_b32 v4, 0x1fc, v4, v95
	v_and_or_b32 v11, 0x3fc, v5, v83
	;; [unrolled: 1-line block ×6, first 2 shown]
	v_lshlrev_b32_e32 v125, 4, v6
	v_and_or_b32 v122, 0x3fc, v9, v1
	v_and_or_b32 v124, 0x4fc, v10, v94
	v_lshlrev_b32_e32 v148, 4, v0
	v_lshlrev_b32_e32 v135, 4, v2
	ds_read_b128 v[0:3], v176 offset:10080
	v_lshlrev_b32_e32 v134, 4, v4
	ds_read_b128 v[4:7], v176 offset:11088
	;; [unrolled: 2-line block ×5, first 2 shown]
	ds_read_b128 v[20:23], v176 offset:15120
	ds_read_b128 v[24:27], v176
	ds_read_b128 v[32:35], v176 offset:1008
	ds_read_b128 v[28:31], v176 offset:16128
	;; [unrolled: 1-line block ×9, first 2 shown]
	s_waitcnt vmcnt(6) lgkmcnt(12)
	v_mul_f64 v[94:95], v[14:15], v[146:147]
	s_waitcnt vmcnt(5) lgkmcnt(10)
	v_mul_f64 v[102:103], v[22:23], v[142:143]
	v_mul_f64 v[96:97], v[12:13], v[146:147]
	s_waitcnt vmcnt(4) lgkmcnt(7)
	v_mul_f64 v[106:107], v[30:31], v[86:87]
	s_waitcnt vmcnt(3)
	v_mul_f64 v[76:77], v[6:7], v[131:132]
	v_mul_f64 v[72:73], v[2:3], v[86:87]
	s_waitcnt vmcnt(2) lgkmcnt(6)
	v_mul_f64 v[110:111], v[38:39], v[138:139]
	s_waitcnt vmcnt(1) lgkmcnt(2)
	v_mul_f64 v[118:119], v[54:55], v[64:65]
	buffer_store_dword v64, off, s[36:39], 0 offset:428 ; 4-byte Folded Spill
	buffer_store_dword v65, off, s[36:39], 0 offset:432 ; 4-byte Folded Spill
	v_mul_f64 v[74:75], v[0:1], v[86:87]
	v_mul_f64 v[114:115], v[50:51], v[86:87]
	;; [unrolled: 1-line block ×11, first 2 shown]
	v_fma_f64 v[94:95], v[12:13], v[144:145], -v[94:95]
	v_fma_f64 v[102:103], v[20:21], v[140:141], -v[102:103]
	;; [unrolled: 1-line block ×3, first 2 shown]
	s_waitcnt vmcnt(0)
	v_fma_f64 v[76:77], v[4:5], v[149:150], -v[76:77]
	v_fma_f64 v[72:73], v[0:1], v[84:85], -v[72:73]
	;; [unrolled: 1-line block ×3, first 2 shown]
	v_fma_f64 v[74:75], v[2:3], v[84:85], v[74:75]
	v_fma_f64 v[110:111], v[48:49], v[84:85], -v[114:115]
	v_fma_f64 v[114:115], v[52:53], v[129:130], -v[118:119]
	v_fma_f64 v[30:31], v[30:31], v[84:85], v[108:109]
	v_lshlrev_b32_e32 v118, 4, v122
	v_fma_f64 v[80:81], v[8:9], v[84:85], -v[80:81]
	v_fma_f64 v[82:83], v[10:11], v[84:85], v[82:83]
	v_fma_f64 v[98:99], v[16:17], v[84:85], -v[98:99]
	v_fma_f64 v[100:101], v[18:19], v[84:85], v[100:101]
	v_add_f64 v[20:21], v[44:45], -v[94:95]
	s_waitcnt lgkmcnt(0)
	v_add_f64 v[48:49], v[60:61], -v[102:103]
	v_lshlrev_b32_e32 v95, 4, v123
	v_lshlrev_b32_e32 v94, 4, v124
	v_add_f64 v[12:13], v[32:33], -v[76:77]
	v_add_f64 v[8:9], v[24:25], -v[72:73]
	;; [unrolled: 1-line block ×6, first 2 shown]
	v_fma_f64 v[44:45], v[44:45], 2.0, -v[20:21]
	v_fma_f64 v[60:61], v[60:61], 2.0, -v[48:49]
	;; [unrolled: 1-line block ×8, first 2 shown]
	v_mul_f64 v[120:121], v[52:53], v[64:65]
	ds_read_b128 v[64:67], v176 offset:6048
	ds_read_b128 v[68:71], v176 offset:7056
	buffer_store_dword v149, off, s[36:39], 0 offset:420 ; 4-byte Folded Spill
	buffer_store_dword v150, off, s[36:39], 0 offset:424 ; 4-byte Folded Spill
	;; [unrolled: 1-line block ×14, first 2 shown]
	ds_read_b128 v[0:3], v176 offset:8064
	buffer_store_dword v129, off, s[36:39], 0 offset:332 ; 4-byte Folded Spill
	buffer_store_dword v130, off, s[36:39], 0 offset:336 ; 4-byte Folded Spill
	;; [unrolled: 1-line block ×4, first 2 shown]
	s_waitcnt lgkmcnt(2)
	v_add_f64 v[52:53], v[64:65], -v[28:29]
	s_waitcnt lgkmcnt(1)
	v_add_f64 v[72:73], v[68:69], -v[106:107]
	;; [unrolled: 2-line block ×3, first 2 shown]
	v_fma_f64 v[64:65], v[64:65], 2.0, -v[52:53]
	v_fma_f64 v[68:69], v[68:69], 2.0, -v[72:73]
	;; [unrolled: 1-line block ×3, first 2 shown]
	v_fma_f64 v[96:97], v[14:15], v[144:145], v[96:97]
	v_fma_f64 v[78:79], v[6:7], v[149:150], v[78:79]
	v_fma_f64 v[104:105], v[22:23], v[140:141], v[104:105]
	v_fma_f64 v[108:109], v[38:39], v[136:137], v[112:113]
	v_fma_f64 v[112:113], v[50:51], v[84:85], v[116:117]
	v_fma_f64 v[116:117], v[54:55], v[129:130], v[120:121]
	ds_read_b128 v[4:7], v176 offset:9072
	v_add_f64 v[38:39], v[58:59], -v[100:101]
	v_add_f64 v[54:55], v[66:67], -v[30:31]
	s_waitcnt lgkmcnt(0)
	s_waitcnt_vscnt null, 0x0
	s_barrier
	buffer_gl0_inv
	ds_write_b128 v125, v[8:11] offset:32
	buffer_store_dword v125, off, s[36:39], 0 offset:328 ; 4-byte Folded Spill
	v_add_f64 v[22:23], v[46:47], -v[96:97]
	v_add_f64 v[14:15], v[34:35], -v[78:79]
	;; [unrolled: 1-line block ×7, first 2 shown]
	v_fma_f64 v[58:59], v[58:59], 2.0, -v[38:39]
	v_fma_f64 v[66:67], v[66:67], 2.0, -v[54:55]
	;; [unrolled: 1-line block ×9, first 2 shown]
	ds_write_b128 v125, v[24:27]
	ds_write_b128 v148, v[32:35]
	buffer_store_dword v148, off, s[36:39], 0 offset:416 ; 4-byte Folded Spill
	ds_write_b128 v148, v[12:15] offset:32
	ds_write_b128 v135, v[40:43]
	buffer_store_dword v135, off, s[36:39], 0 offset:396 ; 4-byte Folded Spill
	ds_write_b128 v135, v[16:19] offset:32
	ds_write_b128 v134, v[44:47]
	buffer_store_dword v134, off, s[36:39], 0 offset:392 ; 4-byte Folded Spill
	ds_write_b128 v134, v[20:23] offset:32
	ds_write_b128 v133, v[56:59]
	buffer_store_dword v133, off, s[36:39], 0 offset:372 ; 4-byte Folded Spill
	ds_write_b128 v133, v[36:39] offset:32
	ds_write_b128 v127, v[60:63]
	buffer_store_dword v127, off, s[36:39], 0 offset:352 ; 4-byte Folded Spill
	ds_write_b128 v127, v[48:51] offset:32
	ds_write_b128 v126, v[64:67]
	buffer_store_dword v126, off, s[36:39], 0 offset:348 ; 4-byte Folded Spill
	ds_write_b128 v126, v[52:55] offset:32
	ds_write_b128 v118, v[68:71]
	buffer_store_dword v118, off, s[36:39], 0 offset:436 ; 4-byte Folded Spill
	ds_write_b128 v118, v[72:75] offset:32
	ds_write_b128 v95, v[80:83]
	buffer_store_dword v95, off, s[36:39], 0 offset:444 ; 4-byte Folded Spill
	ds_write_b128 v95, v[76:79] offset:32
	ds_write_b128 v94, v[0:3]
	buffer_store_dword v94, off, s[36:39], 0 offset:440 ; 4-byte Folded Spill
	ds_write_b128 v94, v[28:31] offset:32
	s_waitcnt lgkmcnt(0)
	s_waitcnt_vscnt null, 0x0
	s_barrier
	buffer_gl0_inv
	ds_read_b128 v[24:27], v176
	ds_read_b128 v[20:23], v176 offset:1008
	ds_read_b128 v[80:83], v176 offset:6720
	;; [unrolled: 1-line block ×17, first 2 shown]
                                        ; implicit-def: $vgpr60_vgpr61
	s_and_saveexec_b32 s0, vcc_lo
	s_cbranch_execz .LBB0_3
; %bb.2:
	ds_read_b128 v[0:3], v176 offset:6048
	ds_read_b128 v[28:31], v176 offset:12768
	;; [unrolled: 1-line block ×3, first 2 shown]
.LBB0_3:
	s_or_b32 exec_lo, exec_lo, s0
	v_and_b32_e32 v93, 3, v177
	v_and_b32_e32 v137, 3, v91
	;; [unrolled: 1-line block ×5, first 2 shown]
	v_lshlrev_b32_e32 v94, 5, v93
	v_lshlrev_b32_e32 v104, 5, v137
	s_mov_b32 s0, 0xe8584caa
	s_mov_b32 s1, 0x3febb67a
	;; [unrolled: 1-line block ×3, first 2 shown]
	s_clause 0x2
	global_load_dwordx4 v[100:103], v94, s[14:15] offset:32
	global_load_dwordx4 v[124:127], v94, s[14:15] offset:48
	;; [unrolled: 1-line block ×3, first 2 shown]
	v_lshlrev_b32_e32 v94, 5, v138
	s_mov_b32 s4, s0
	s_clause 0x2
	global_load_dwordx4 v[129:132], v104, s[14:15] offset:48
	global_load_dwordx2 v[105:106], v94, s[14:15] offset:32
	global_load_dwordx4 v[145:148], v104, s[14:15] offset:40
	s_waitcnt vmcnt(5) lgkmcnt(15)
	v_mul_f64 v[94:95], v[82:83], v[102:103]
	v_mul_f64 v[96:97], v[80:81], v[102:103]
	s_waitcnt vmcnt(4) lgkmcnt(13)
	v_mul_f64 v[98:99], v[78:79], v[126:127]
	v_fma_f64 v[80:81], v[80:81], v[100:101], -v[94:95]
	v_fma_f64 v[82:83], v[82:83], v[100:101], v[96:97]
	v_mul_f64 v[94:95], v[76:77], v[126:127]
	s_waitcnt vmcnt(3)
	v_mul_f64 v[96:97], v[74:75], v[120:121]
	v_fma_f64 v[76:77], v[76:77], v[124:125], -v[98:99]
	s_waitcnt vmcnt(2) lgkmcnt(12)
	v_mul_f64 v[98:99], v[70:71], v[131:132]
	v_fma_f64 v[78:79], v[78:79], v[124:125], v[94:95]
	v_mul_f64 v[94:95], v[72:73], v[120:121]
	s_waitcnt vmcnt(1)
	v_fma_f64 v[72:73], v[72:73], v[105:106], -v[96:97]
	buffer_store_dword v105, off, s[36:39], 0 offset:568 ; 4-byte Folded Spill
	buffer_store_dword v106, off, s[36:39], 0 offset:572 ; 4-byte Folded Spill
	v_and_b32_e32 v97, 3, v90
	v_lshlrev_b32_e32 v96, 5, v139
	buffer_store_dword v97, off, s[36:39], 0 offset:888 ; 4-byte Folded Spill
	v_lshlrev_b32_e32 v97, 5, v97
	v_fma_f64 v[74:75], v[74:75], v[105:106], v[94:95]
	v_mul_f64 v[94:95], v[68:69], v[131:132]
	s_waitcnt vmcnt(0)
	v_fma_f64 v[68:69], v[68:69], v[147:148], -v[98:99]
	s_clause 0x3
	global_load_dwordx2 v[98:99], v96, s[14:15] offset:32
	global_load_dwordx2 v[122:123], v104, s[14:15] offset:56
	global_load_dwordx4 v[133:136], v97, s[14:15] offset:32
	global_load_dwordx4 v[151:154], v97, s[14:15] offset:40
	v_fma_f64 v[70:71], v[70:71], v[147:148], v[94:95]
	s_waitcnt vmcnt(1) lgkmcnt(9)
	v_mul_f64 v[94:95], v[66:67], v[135:136]
	v_fma_f64 v[94:95], v[64:65], v[98:99], -v[94:95]
	buffer_store_dword v98, off, s[36:39], 0 offset:592 ; 4-byte Folded Spill
	buffer_store_dword v99, off, s[36:39], 0 offset:596 ; 4-byte Folded Spill
	s_clause 0x1
	global_load_dwordx2 v[149:150], v97, s[14:15] offset:56
	global_load_dwordx4 v[141:144], v97, s[14:15] offset:48
	v_mul_f64 v[64:65], v[64:65], v[135:136]
	v_fma_f64 v[64:65], v[66:67], v[98:99], v[64:65]
	s_waitcnt vmcnt(0) lgkmcnt(7)
	v_mul_f64 v[66:67], v[58:59], v[143:144]
	v_fma_f64 v[66:67], v[56:57], v[153:154], -v[66:67]
	v_mul_f64 v[56:57], v[56:57], v[143:144]
	v_fma_f64 v[56:57], v[58:59], v[153:154], v[56:57]
	v_lshlrev_b32_e32 v58, 5, v140
	s_clause 0x1
	global_load_dwordx4 v[110:113], v58, s[14:15] offset:32
	global_load_dwordx4 v[106:109], v58, s[14:15] offset:48
	s_waitcnt vmcnt(1)
	v_mul_f64 v[58:59], v[54:55], v[112:113]
	v_fma_f64 v[96:97], v[52:53], v[110:111], -v[58:59]
	v_mul_f64 v[52:53], v[52:53], v[112:113]
	buffer_store_dword v110, off, s[36:39], 0 offset:652 ; 4-byte Folded Spill
	buffer_store_dword v111, off, s[36:39], 0 offset:656 ; 4-byte Folded Spill
	;; [unrolled: 1-line block ×4, first 2 shown]
	v_fma_f64 v[98:99], v[54:55], v[110:111], v[52:53]
	s_waitcnt vmcnt(0) lgkmcnt(6)
	v_mul_f64 v[52:53], v[46:47], v[108:109]
	v_add_f64 v[54:55], v[64:65], -v[56:57]
	v_fma_f64 v[104:105], v[44:45], v[106:107], -v[52:53]
	v_mul_f64 v[44:45], v[44:45], v[108:109]
	buffer_store_dword v106, off, s[36:39], 0 offset:636 ; 4-byte Folded Spill
	buffer_store_dword v107, off, s[36:39], 0 offset:640 ; 4-byte Folded Spill
	buffer_store_dword v108, off, s[36:39], 0 offset:644 ; 4-byte Folded Spill
	buffer_store_dword v109, off, s[36:39], 0 offset:648 ; 4-byte Folded Spill
	v_fma_f64 v[106:107], v[46:47], v[106:107], v[44:45]
	s_waitcnt lgkmcnt(3)
	v_mul_f64 v[44:45], v[50:51], v[102:103]
	v_add_f64 v[46:47], v[72:73], -v[68:69]
	v_fma_f64 v[108:109], v[48:49], v[100:101], -v[44:45]
	v_mul_f64 v[44:45], v[48:49], v[102:103]
	v_fma_f64 v[110:111], v[50:51], v[100:101], v[44:45]
	s_waitcnt lgkmcnt(1)
	v_mul_f64 v[44:45], v[42:43], v[126:127]
	v_fma_f64 v[112:113], v[40:41], v[124:125], -v[44:45]
	v_mul_f64 v[40:41], v[40:41], v[126:127]
	v_fma_f64 v[114:115], v[42:43], v[124:125], v[40:41]
	v_mul_f64 v[40:41], v[38:39], v[145:146]
	buffer_store_dword v145, off, s[36:39], 0 offset:552 ; 4-byte Folded Spill
	buffer_store_dword v146, off, s[36:39], 0 offset:556 ; 4-byte Folded Spill
	;; [unrolled: 1-line block ×4, first 2 shown]
	v_add_f64 v[42:43], v[74:75], -v[70:71]
	v_fma_f64 v[116:117], v[36:37], v[118:119], -v[40:41]
	buffer_store_dword v118, off, s[36:39], 0 offset:500 ; 4-byte Folded Spill
	buffer_store_dword v119, off, s[36:39], 0 offset:504 ; 4-byte Folded Spill
	;; [unrolled: 1-line block ×4, first 2 shown]
	v_mul_f64 v[36:37], v[36:37], v[145:146]
	v_fma_f64 v[118:119], v[38:39], v[118:119], v[36:37]
	s_waitcnt lgkmcnt(0)
	v_mul_f64 v[36:37], v[34:35], v[122:123]
	buffer_store_dword v122, off, s[36:39], 0 offset:628 ; 4-byte Folded Spill
	buffer_store_dword v123, off, s[36:39], 0 offset:632 ; 4-byte Folded Spill
	v_fma_f64 v[120:121], v[32:33], v[129:130], -v[36:37]
	buffer_store_dword v129, off, s[36:39], 0 offset:484 ; 4-byte Folded Spill
	buffer_store_dword v130, off, s[36:39], 0 offset:488 ; 4-byte Folded Spill
	;; [unrolled: 1-line block ×4, first 2 shown]
	v_add_f64 v[36:37], v[82:83], -v[78:79]
	v_mul_f64 v[32:33], v[32:33], v[122:123]
	v_fma_f64 v[122:123], v[34:35], v[129:130], v[32:33]
	v_mul_f64 v[32:33], v[30:31], v[151:152]
	buffer_store_dword v151, off, s[36:39], 0 offset:612 ; 4-byte Folded Spill
	buffer_store_dword v152, off, s[36:39], 0 offset:616 ; 4-byte Folded Spill
	;; [unrolled: 1-line block ×4, first 2 shown]
	v_fma_f64 v[129:130], v[28:29], v[133:134], -v[32:33]
	buffer_store_dword v133, off, s[36:39], 0 offset:516 ; 4-byte Folded Spill
	buffer_store_dword v134, off, s[36:39], 0 offset:520 ; 4-byte Folded Spill
	;; [unrolled: 1-line block ×4, first 2 shown]
	v_mul_f64 v[28:29], v[28:29], v[151:152]
	v_fma_f64 v[131:132], v[30:31], v[133:134], v[28:29]
	v_mul_f64 v[28:29], v[62:63], v[149:150]
	buffer_store_dword v149, off, s[36:39], 0 offset:604 ; 4-byte Folded Spill
	buffer_store_dword v150, off, s[36:39], 0 offset:608 ; 4-byte Folded Spill
	v_fma_f64 v[133:134], v[60:61], v[141:142], -v[28:29]
	buffer_store_dword v141, off, s[36:39], 0 offset:532 ; 4-byte Folded Spill
	buffer_store_dword v142, off, s[36:39], 0 offset:536 ; 4-byte Folded Spill
	;; [unrolled: 1-line block ×4, first 2 shown]
	s_waitcnt_vscnt null, 0x0
	s_barrier
	buffer_gl0_inv
	v_mul_f64 v[28:29], v[60:61], v[149:150]
	v_fma_f64 v[135:136], v[62:63], v[141:142], v[28:29]
	v_add_f64 v[28:29], v[80:81], v[76:77]
	v_fma_f64 v[34:35], v[28:29], -0.5, v[24:25]
	v_add_f64 v[28:29], v[82:83], v[78:79]
	v_add_f64 v[24:25], v[24:25], v[80:81]
	v_fma_f64 v[32:33], v[36:37], s[0:1], v[34:35]
	v_fma_f64 v[38:39], v[28:29], -0.5, v[26:27]
	v_add_f64 v[28:29], v[24:25], v[76:77]
	v_add_f64 v[24:25], v[80:81], -v[76:77]
	v_add_f64 v[26:27], v[26:27], v[82:83]
	v_fma_f64 v[36:37], v[36:37], s[4:5], v[34:35]
	v_fma_f64 v[34:35], v[24:25], s[4:5], v[38:39]
	v_fma_f64 v[38:39], v[24:25], s[0:1], v[38:39]
	v_add_f64 v[24:25], v[72:73], v[68:69]
	v_add_f64 v[30:31], v[26:27], v[78:79]
	;; [unrolled: 1-line block ×3, first 2 shown]
	v_fma_f64 v[24:25], v[24:25], -0.5, v[20:21]
	v_add_f64 v[20:21], v[20:21], v[72:73]
	v_fma_f64 v[26:27], v[26:27], -0.5, v[22:23]
	v_add_f64 v[22:23], v[22:23], v[74:75]
	v_fma_f64 v[40:41], v[42:43], s[0:1], v[24:25]
	v_fma_f64 v[44:45], v[42:43], s[4:5], v[24:25]
	v_add_f64 v[24:25], v[94:95], v[66:67]
	v_fma_f64 v[42:43], v[46:47], s[4:5], v[26:27]
	v_fma_f64 v[46:47], v[46:47], s[0:1], v[26:27]
	v_add_f64 v[26:27], v[64:65], v[56:57]
	v_add_f64 v[20:21], v[20:21], v[68:69]
	;; [unrolled: 1-line block ×3, first 2 shown]
	v_fma_f64 v[24:25], v[24:25], -0.5, v[16:17]
	v_add_f64 v[16:17], v[16:17], v[94:95]
	v_fma_f64 v[26:27], v[26:27], -0.5, v[18:19]
	v_add_f64 v[18:19], v[18:19], v[64:65]
	v_fma_f64 v[52:53], v[54:55], s[0:1], v[24:25]
	v_add_f64 v[48:49], v[16:17], v[66:67]
	v_add_f64 v[16:17], v[94:95], -v[66:67]
	v_add_f64 v[94:95], v[129:130], -v[133:134]
	v_add_f64 v[50:51], v[18:19], v[56:57]
	v_fma_f64 v[56:57], v[54:55], s[4:5], v[24:25]
	v_add_f64 v[18:19], v[98:99], v[106:107]
	v_add_f64 v[24:25], v[98:99], -v[106:107]
	v_fma_f64 v[54:55], v[16:17], s[4:5], v[26:27]
	v_fma_f64 v[58:59], v[16:17], s[0:1], v[26:27]
	v_add_f64 v[16:17], v[96:97], v[104:105]
	v_add_f64 v[26:27], v[96:97], -v[104:105]
	v_fma_f64 v[18:19], v[18:19], -0.5, v[14:15]
	v_add_f64 v[14:15], v[14:15], v[98:99]
	v_fma_f64 v[16:17], v[16:17], -0.5, v[12:13]
	v_add_f64 v[12:13], v[12:13], v[96:97]
	v_fma_f64 v[62:63], v[26:27], s[4:5], v[18:19]
	v_fma_f64 v[66:67], v[26:27], s[0:1], v[18:19]
	v_add_f64 v[18:19], v[110:111], v[114:115]
	v_add_f64 v[26:27], v[108:109], -v[112:113]
	v_add_f64 v[14:15], v[14:15], v[106:107]
	v_fma_f64 v[60:61], v[24:25], s[0:1], v[16:17]
	v_fma_f64 v[64:65], v[24:25], s[4:5], v[16:17]
	v_add_f64 v[16:17], v[108:109], v[112:113]
	v_add_f64 v[24:25], v[110:111], -v[114:115]
	v_fma_f64 v[18:19], v[18:19], -0.5, v[10:11]
	v_add_f64 v[10:11], v[10:11], v[110:111]
	v_add_f64 v[12:13], v[12:13], v[104:105]
	v_fma_f64 v[16:17], v[16:17], -0.5, v[8:9]
	v_add_f64 v[8:9], v[8:9], v[108:109]
	v_fma_f64 v[70:71], v[26:27], s[4:5], v[18:19]
	v_fma_f64 v[74:75], v[26:27], s[0:1], v[18:19]
	v_add_f64 v[18:19], v[118:119], v[122:123]
	v_add_f64 v[26:27], v[116:117], -v[120:121]
	v_add_f64 v[10:11], v[10:11], v[114:115]
	v_fma_f64 v[68:69], v[24:25], s[0:1], v[16:17]
	v_fma_f64 v[72:73], v[24:25], s[4:5], v[16:17]
	v_add_f64 v[16:17], v[116:117], v[120:121]
	v_add_f64 v[24:25], v[118:119], -v[122:123]
	v_fma_f64 v[18:19], v[18:19], -0.5, v[6:7]
	v_add_f64 v[6:7], v[6:7], v[118:119]
	v_add_f64 v[8:9], v[8:9], v[112:113]
	v_fma_f64 v[16:17], v[16:17], -0.5, v[4:5]
	v_add_f64 v[4:5], v[4:5], v[116:117]
	v_fma_f64 v[78:79], v[26:27], s[4:5], v[18:19]
	v_fma_f64 v[82:83], v[26:27], s[0:1], v[18:19]
	v_add_f64 v[6:7], v[6:7], v[122:123]
	v_fma_f64 v[76:77], v[24:25], s[0:1], v[16:17]
	v_fma_f64 v[80:81], v[24:25], s[4:5], v[16:17]
	v_add_f64 v[16:17], v[129:130], v[133:134]
	v_add_f64 v[24:25], v[131:132], -v[135:136]
	v_add_f64 v[4:5], v[4:5], v[120:121]
	v_fma_f64 v[18:19], v[16:17], -0.5, v[0:1]
	v_add_f64 v[16:17], v[131:132], v[135:136]
	v_add_f64 v[0:1], v[0:1], v[129:130]
	v_fma_f64 v[26:27], v[16:17], -0.5, v[2:3]
	v_fma_f64 v[16:17], v[24:25], s[0:1], v[18:19]
	v_fma_f64 v[24:25], v[24:25], s[4:5], v[18:19]
	v_add_f64 v[2:3], v[2:3], v[131:132]
	v_add_f64 v[0:1], v[0:1], v[133:134]
	v_fma_f64 v[18:19], v[94:95], s[4:5], v[26:27]
	v_fma_f64 v[26:27], v[94:95], s[0:1], v[26:27]
	v_lshrrev_b32_e32 v94, 2, v177
	v_add_f64 v[2:3], v[2:3], v[135:136]
	v_mul_u32_u24_e32 v94, 12, v94
	v_or_b32_e32 v94, v94, v93
	v_lshlrev_b32_e32 v94, 4, v94
	ds_write_b128 v94, v[28:31]
	ds_write_b128 v94, v[32:35] offset:64
	v_lshrrev_b32_e32 v28, 2, v89
	buffer_store_dword v94, off, s[36:39], 0 offset:584 ; 4-byte Folded Spill
	ds_write_b128 v94, v[36:39] offset:128
	v_mul_u32_u24_e32 v28, 12, v28
	v_or_b32_e32 v28, v28, v138
	v_lshlrev_b32_e32 v28, 4, v28
	ds_write_b128 v28, v[20:23]
	ds_write_b128 v28, v[40:43] offset:64
	v_lshrrev_b32_e32 v20, 2, v128
	v_lshrrev_b32_e32 v21, 2, v88
	;; [unrolled: 1-line block ×4, first 2 shown]
	buffer_store_dword v28, off, s[36:39], 0 offset:580 ; 4-byte Folded Spill
	v_mul_u32_u24_e32 v20, 12, v20
	v_mul_u32_u24_e32 v21, 12, v21
	;; [unrolled: 1-line block ×4, first 2 shown]
	ds_write_b128 v28, v[44:47] offset:128
	v_or_b32_e32 v20, v20, v139
	v_or_b32_e32 v21, v21, v140
	;; [unrolled: 1-line block ×4, first 2 shown]
	v_lshlrev_b32_e32 v29, 4, v20
	v_lshrrev_b32_e32 v20, 2, v90
	v_lshlrev_b32_e32 v28, 4, v21
	v_lshlrev_b32_e32 v21, 4, v22
	buffer_store_dword v20, off, s[36:39], 0 offset:892 ; 4-byte Folded Spill
	v_lshlrev_b32_e32 v20, 4, v23
	ds_write_b128 v29, v[48:51]
	ds_write_b128 v29, v[52:55] offset:64
	buffer_store_dword v29, off, s[36:39], 0 offset:600 ; 4-byte Folded Spill
	ds_write_b128 v29, v[56:59] offset:128
	ds_write_b128 v28, v[12:15]
	ds_write_b128 v28, v[60:63] offset:64
	buffer_store_dword v28, off, s[36:39], 0 offset:588 ; 4-byte Folded Spill
	ds_write_b128 v28, v[64:67] offset:128
	;; [unrolled: 4-line block ×4, first 2 shown]
	s_and_saveexec_b32 s0, vcc_lo
	s_cbranch_execz .LBB0_5
; %bb.4:
	v_lshrrev_b32_e32 v4, 2, v90
	v_and_b32_e32 v5, 3, v90
	v_mul_u32_u24_e32 v4, 12, v4
	v_or_b32_e32 v4, v4, v5
	v_lshlrev_b32_e32 v4, 4, v4
	ds_write_b128 v4, v[0:3]
	ds_write_b128 v4, v[16:19] offset:64
	ds_write_b128 v4, v[24:27] offset:128
.LBB0_5:
	s_or_b32 exec_lo, exec_lo, s0
	s_waitcnt lgkmcnt(0)
	s_waitcnt_vscnt null, 0x0
	s_barrier
	buffer_gl0_inv
	ds_read_b128 v[32:35], v176
	ds_read_b128 v[28:31], v176 offset:1008
	ds_read_b128 v[80:83], v176 offset:6720
	;; [unrolled: 1-line block ×17, first 2 shown]
	s_and_saveexec_b32 s0, vcc_lo
	s_cbranch_execz .LBB0_7
; %bb.6:
	ds_read_b128 v[0:3], v176 offset:6048
	ds_read_b128 v[16:19], v176 offset:12768
	;; [unrolled: 1-line block ×3, first 2 shown]
.LBB0_7:
	s_or_b32 exec_lo, exec_lo, s0
	v_and_b32_e32 v93, 0xff, v177
	v_and_b32_e32 v95, 0xff, v89
	v_mul_lo_u16 v93, 0xab, v93
	v_lshrrev_b16 v94, 11, v93
	v_mul_lo_u16 v93, v94, 12
	v_sub_nc_u16 v93, v177, v93
	v_and_b32_e32 v129, 0xff, v93
	v_mul_lo_u16 v93, 0xab, v95
	v_lshlrev_b32_e32 v96, 5, v129
	v_lshrrev_b16 v130, 11, v93
	s_clause 0x1
	global_load_dwordx4 v[240:243], v96, s[14:15] offset:160
	global_load_dwordx4 v[236:239], v96, s[14:15] offset:176
	v_mul_lo_u16 v93, v130, 12
	v_sub_nc_u16 v93, v89, v93
	v_and_b32_e32 v131, 0xff, v93
	v_lshlrev_b32_e32 v93, 5, v131
	s_clause 0x1
	global_load_dwordx4 v[228:231], v93, s[14:15] offset:160
	global_load_dwordx4 v[232:235], v93, s[14:15] offset:176
	v_and_b32_e32 v93, 0xff, v128
	v_mul_lo_u16 v96, 0xab, v93
	v_lshrrev_b16 v132, 11, v96
	v_mul_lo_u16 v108, v132, 12
	v_sub_nc_u16 v108, v128, v108
	v_and_b32_e32 v133, 0xff, v108
	v_lshlrev_b32_e32 v108, 5, v133
	s_clause 0x1
	global_load_dwordx4 v[208:211], v108, s[14:15] offset:160
	global_load_dwordx4 v[224:227], v108, s[14:15] offset:176
	s_waitcnt vmcnt(5) lgkmcnt(15)
	v_mul_f64 v[96:97], v[82:83], v[242:243]
	v_mul_f64 v[98:99], v[80:81], v[242:243]
	s_waitcnt vmcnt(4) lgkmcnt(13)
	v_mul_f64 v[104:105], v[78:79], v[238:239]
	v_mul_f64 v[106:107], v[76:77], v[238:239]
	v_fma_f64 v[80:81], v[80:81], v[240:241], -v[96:97]
	s_waitcnt vmcnt(3)
	v_mul_f64 v[96:97], v[74:75], v[230:231]
	v_fma_f64 v[82:83], v[82:83], v[240:241], v[98:99]
	v_mul_f64 v[98:99], v[72:73], v[230:231]
	v_fma_f64 v[76:77], v[76:77], v[236:237], -v[104:105]
	v_fma_f64 v[78:79], v[78:79], v[236:237], v[106:107]
	v_fma_f64 v[72:73], v[72:73], v[228:229], -v[96:97]
	s_waitcnt vmcnt(2) lgkmcnt(12)
	v_mul_f64 v[96:97], v[70:71], v[234:235]
	v_fma_f64 v[74:75], v[74:75], v[228:229], v[98:99]
	v_mul_f64 v[98:99], v[68:69], v[234:235]
	v_fma_f64 v[68:69], v[68:69], v[232:233], -v[96:97]
	s_waitcnt vmcnt(1) lgkmcnt(9)
	v_mul_f64 v[96:97], v[66:67], v[210:211]
	v_fma_f64 v[70:71], v[70:71], v[232:233], v[98:99]
	v_fma_f64 v[96:97], v[64:65], v[208:209], -v[96:97]
	v_mul_f64 v[64:65], v[64:65], v[210:211]
	v_fma_f64 v[64:65], v[66:67], v[208:209], v[64:65]
	s_waitcnt vmcnt(0) lgkmcnt(7)
	v_mul_f64 v[66:67], v[62:63], v[226:227]
	v_fma_f64 v[66:67], v[60:61], v[224:225], -v[66:67]
	v_mul_f64 v[60:61], v[60:61], v[226:227]
	v_fma_f64 v[61:62], v[62:63], v[224:225], v[60:61]
	v_and_b32_e32 v60, 0xff, v88
	v_mul_lo_u16 v63, 0xab, v60
	v_lshrrev_b16 v134, 11, v63
	v_mul_lo_u16 v63, v134, 12
	v_sub_nc_u16 v63, v88, v63
	v_and_b32_e32 v135, 0xff, v63
	v_lshlrev_b32_e32 v63, 5, v135
	s_clause 0x1
	global_load_dwordx4 v[220:223], v63, s[14:15] offset:160
	global_load_dwordx4 v[216:219], v63, s[14:15] offset:176
	s_waitcnt vmcnt(1)
	v_mul_f64 v[98:99], v[58:59], v[222:223]
	v_fma_f64 v[98:99], v[56:57], v[220:221], -v[98:99]
	v_mul_f64 v[56:57], v[56:57], v[222:223]
	v_fma_f64 v[104:105], v[58:59], v[220:221], v[56:57]
	s_waitcnt vmcnt(0) lgkmcnt(6)
	v_mul_f64 v[56:57], v[54:55], v[218:219]
	v_fma_f64 v[106:107], v[52:53], v[216:217], -v[56:57]
	v_mul_f64 v[52:53], v[52:53], v[218:219]
	v_add_f64 v[56:57], v[64:65], -v[61:62]
	v_fma_f64 v[108:109], v[54:55], v[216:217], v[52:53]
	v_mov_b32_e32 v54, 0xaaab
	v_mul_u32_u24_sdwa v52, v92, v54 dst_sel:DWORD dst_unused:UNUSED_PAD src0_sel:WORD_0 src1_sel:DWORD
	v_lshrrev_b32_e32 v136, 19, v52
	v_mul_lo_u16 v52, v136, 12
	v_sub_nc_u16 v137, v92, v52
	v_lshlrev_b16 v52, 5, v137
	v_and_b32_e32 v52, 0xffff, v52
	v_add_co_u32 v52, s0, s14, v52
	v_add_co_ci_u32_e64 v53, null, s15, 0, s0
	s_clause 0x1
	global_load_dwordx4 v[212:215], v[52:53], off offset:160
	global_load_dwordx4 v[192:195], v[52:53], off offset:176
	s_waitcnt vmcnt(1) lgkmcnt(3)
	v_mul_f64 v[52:53], v[50:51], v[214:215]
	v_fma_f64 v[110:111], v[48:49], v[212:213], -v[52:53]
	v_mul_f64 v[48:49], v[48:49], v[214:215]
	v_add_f64 v[52:53], v[72:73], -v[68:69]
	v_fma_f64 v[112:113], v[50:51], v[212:213], v[48:49]
	s_waitcnt vmcnt(0) lgkmcnt(1)
	v_mul_f64 v[48:49], v[46:47], v[194:195]
	v_fma_f64 v[114:115], v[44:45], v[192:193], -v[48:49]
	v_mul_f64 v[44:45], v[44:45], v[194:195]
	v_fma_f64 v[116:117], v[46:47], v[192:193], v[44:45]
	v_mul_u32_u24_sdwa v44, v91, v54 dst_sel:DWORD dst_unused:UNUSED_PAD src0_sel:WORD_0 src1_sel:DWORD
	v_lshrrev_b32_e32 v138, 19, v44
	v_mul_lo_u16 v44, v138, 12
	v_sub_nc_u16 v139, v91, v44
	v_lshlrev_b16 v44, 5, v139
	v_and_b32_e32 v44, 0xffff, v44
	v_add_co_u32 v44, s0, s14, v44
	v_add_co_ci_u32_e64 v45, null, s15, 0, s0
	s_clause 0x1
	global_load_dwordx4 v[196:199], v[44:45], off offset:160
	global_load_dwordx4 v[46:49], v[44:45], off offset:176
	s_waitcnt vmcnt(1)
	v_mul_f64 v[44:45], v[42:43], v[198:199]
	v_fma_f64 v[91:92], v[40:41], v[196:197], -v[44:45]
	v_mul_f64 v[40:41], v[40:41], v[198:199]
	v_add_f64 v[44:45], v[80:81], -v[76:77]
	v_fma_f64 v[118:119], v[42:43], v[196:197], v[40:41]
	s_waitcnt vmcnt(0) lgkmcnt(0)
	v_mul_f64 v[40:41], v[38:39], v[48:49]
	v_fma_f64 v[120:121], v[36:37], v[46:47], -v[40:41]
	v_mul_f64 v[36:37], v[36:37], v[48:49]
	buffer_store_dword v46, off, s[36:39], 0 offset:824 ; 4-byte Folded Spill
	buffer_store_dword v47, off, s[36:39], 0 offset:828 ; 4-byte Folded Spill
	;; [unrolled: 1-line block ×4, first 2 shown]
	v_add_f64 v[48:49], v[74:75], -v[70:71]
	v_fma_f64 v[122:123], v[38:39], v[46:47], v[36:37]
	v_mul_u32_u24_sdwa v36, v90, v54 dst_sel:DWORD dst_unused:UNUSED_PAD src0_sel:WORD_0 src1_sel:DWORD
	v_lshrrev_b32_e32 v140, 19, v36
	v_mul_lo_u16 v36, v140, 12
	v_sub_nc_u16 v90, v90, v36
	v_lshlrev_b16 v36, 5, v90
	v_and_b32_e32 v36, 0xffff, v36
	v_add_co_u32 v36, s0, s14, v36
	v_add_co_ci_u32_e64 v37, null, s15, 0, s0
	s_clause 0x1
	global_load_dwordx4 v[188:191], v[36:37], off offset:160
	global_load_dwordx4 v[184:187], v[36:37], off offset:176
	s_mov_b32 s0, 0xe8584caa
	s_mov_b32 s1, 0x3febb67a
	;; [unrolled: 1-line block ×3, first 2 shown]
	s_waitcnt vmcnt(0)
	s_waitcnt_vscnt null, 0x0
	s_barrier
	buffer_gl0_inv
	v_mul_f64 v[36:37], v[18:19], v[190:191]
	v_fma_f64 v[36:37], v[16:17], v[188:189], -v[36:37]
	v_mul_f64 v[16:17], v[16:17], v[190:191]
	v_fma_f64 v[38:39], v[18:19], v[188:189], v[16:17]
	v_mul_f64 v[16:17], v[26:27], v[186:187]
	v_mul_f64 v[18:19], v[24:25], v[186:187]
	v_fma_f64 v[16:17], v[24:25], v[184:185], -v[16:17]
	v_add_f64 v[24:25], v[80:81], v[76:77]
	v_fma_f64 v[18:19], v[26:27], v[184:185], v[18:19]
	v_fma_f64 v[40:41], v[24:25], -0.5, v[32:33]
	v_add_f64 v[24:25], v[82:83], v[78:79]
	v_add_f64 v[32:33], v[32:33], v[80:81]
	v_fma_f64 v[42:43], v[24:25], -0.5, v[34:35]
	v_add_f64 v[24:25], v[34:35], v[82:83]
	v_add_f64 v[34:35], v[82:83], -v[78:79]
	v_add_f64 v[26:27], v[24:25], v[78:79]
	v_add_f64 v[24:25], v[32:33], v[76:77]
	v_fma_f64 v[32:33], v[34:35], s[0:1], v[40:41]
	v_fma_f64 v[40:41], v[34:35], s[4:5], v[40:41]
	;; [unrolled: 1-line block ×4, first 2 shown]
	v_add_f64 v[44:45], v[72:73], v[68:69]
	v_fma_f64 v[46:47], v[44:45], -0.5, v[28:29]
	v_add_f64 v[44:45], v[74:75], v[70:71]
	v_add_f64 v[28:29], v[28:29], v[72:73]
	v_fma_f64 v[50:51], v[44:45], -0.5, v[30:31]
	v_fma_f64 v[44:45], v[48:49], s[0:1], v[46:47]
	v_fma_f64 v[48:49], v[48:49], s[4:5], v[46:47]
	v_add_f64 v[30:31], v[30:31], v[74:75]
	v_add_f64 v[28:29], v[28:29], v[68:69]
	v_add_f64 v[75:76], v[112:113], -v[116:117]
	v_fma_f64 v[46:47], v[52:53], s[4:5], v[50:51]
	v_fma_f64 v[50:51], v[52:53], s[0:1], v[50:51]
	v_add_f64 v[52:53], v[96:97], v[66:67]
	v_add_f64 v[30:31], v[30:31], v[70:71]
	v_add_f64 v[69:70], v[98:99], -v[106:107]
	v_fma_f64 v[54:55], v[52:53], -0.5, v[20:21]
	v_add_f64 v[52:53], v[64:65], v[61:62]
	v_add_f64 v[20:21], v[20:21], v[96:97]
	v_fma_f64 v[58:59], v[52:53], -0.5, v[22:23]
	v_add_f64 v[22:23], v[22:23], v[64:65]
	v_fma_f64 v[52:53], v[56:57], s[0:1], v[54:55]
	v_fma_f64 v[56:57], v[56:57], s[4:5], v[54:55]
	v_add_f64 v[20:21], v[20:21], v[66:67]
	v_add_f64 v[22:23], v[22:23], v[61:62]
	v_add_f64 v[61:62], v[96:97], -v[66:67]
	v_add_f64 v[65:66], v[104:105], -v[108:109]
	v_fma_f64 v[54:55], v[61:62], s[4:5], v[58:59]
	v_fma_f64 v[58:59], v[61:62], s[0:1], v[58:59]
	v_add_f64 v[61:62], v[98:99], v[106:107]
	v_fma_f64 v[63:64], v[61:62], -0.5, v[12:13]
	v_add_f64 v[61:62], v[104:105], v[108:109]
	v_add_f64 v[12:13], v[12:13], v[98:99]
	v_fma_f64 v[67:68], v[61:62], -0.5, v[14:15]
	v_fma_f64 v[61:62], v[65:66], s[0:1], v[63:64]
	v_fma_f64 v[65:66], v[65:66], s[4:5], v[63:64]
	v_add_f64 v[12:13], v[12:13], v[106:107]
	v_add_f64 v[14:15], v[14:15], v[104:105]
	v_fma_f64 v[63:64], v[69:70], s[4:5], v[67:68]
	v_fma_f64 v[67:68], v[69:70], s[0:1], v[67:68]
	v_mul_lo_u16 v69, v94, 36
	v_add_f64 v[14:15], v[14:15], v[108:109]
	v_and_b32_e32 v69, 0xfc, v69
	v_add_lshl_u32 v77, v69, v129, 4
	ds_write_b128 v77, v[24:27]
	v_add_f64 v[24:25], v[110:111], v[114:115]
	ds_write_b128 v77, v[32:35] offset:192
	buffer_store_dword v77, off, s[36:39], 0 offset:720 ; 4-byte Folded Spill
	ds_write_b128 v77, v[40:43] offset:384
	v_fma_f64 v[71:72], v[24:25], -0.5, v[8:9]
	v_add_f64 v[24:25], v[112:113], v[116:117]
	v_add_f64 v[8:9], v[8:9], v[110:111]
	v_fma_f64 v[69:70], v[75:76], s[0:1], v[71:72]
	v_fma_f64 v[73:74], v[24:25], -0.5, v[10:11]
	v_add_f64 v[24:25], v[8:9], v[114:115]
	v_add_f64 v[8:9], v[110:111], -v[114:115]
	v_add_f64 v[10:11], v[10:11], v[112:113]
	v_fma_f64 v[80:81], v[75:76], s[4:5], v[71:72]
	v_fma_f64 v[71:72], v[8:9], s[4:5], v[73:74]
	;; [unrolled: 1-line block ×3, first 2 shown]
	v_add_f64 v[8:9], v[91:92], v[120:121]
	v_add_f64 v[26:27], v[10:11], v[116:117]
	;; [unrolled: 1-line block ×3, first 2 shown]
	v_add_f64 v[73:74], v[118:119], -v[122:123]
	v_fma_f64 v[8:9], v[8:9], -0.5, v[4:5]
	v_add_f64 v[4:5], v[4:5], v[91:92]
	v_fma_f64 v[10:11], v[10:11], -0.5, v[6:7]
	v_add_f64 v[6:7], v[6:7], v[118:119]
	v_fma_f64 v[104:105], v[73:74], s[0:1], v[8:9]
	v_add_f64 v[96:97], v[4:5], v[120:121]
	v_add_f64 v[4:5], v[91:92], -v[120:121]
	v_fma_f64 v[108:109], v[73:74], s[4:5], v[8:9]
	v_add_f64 v[8:9], v[38:39], v[18:19]
	v_add_f64 v[98:99], v[6:7], v[122:123]
	v_add_f64 v[6:7], v[38:39], -v[18:19]
	v_fma_f64 v[106:107], v[4:5], s[4:5], v[10:11]
	v_fma_f64 v[110:111], v[4:5], s[0:1], v[10:11]
	v_mov_b32_e32 v4, 36
	v_add_f64 v[10:11], v[36:37], -v[16:17]
	v_fma_f64 v[8:9], v[8:9], -0.5, v[2:3]
	v_mul_u32_u24_sdwa v5, v130, v4 dst_sel:DWORD dst_unused:UNUSED_PAD src0_sel:WORD_0 src1_sel:DWORD
	v_add_lshl_u32 v5, v5, v131, 4
	ds_write_b128 v5, v[28:31]
	ds_write_b128 v5, v[44:47] offset:192
	buffer_store_dword v5, off, s[36:39], 0 offset:788 ; 4-byte Folded Spill
	ds_write_b128 v5, v[48:51] offset:384
	v_mul_u32_u24_sdwa v5, v132, v4 dst_sel:DWORD dst_unused:UNUSED_PAD src0_sel:WORD_0 src1_sel:DWORD
	v_mul_u32_u24_sdwa v4, v134, v4 dst_sel:DWORD dst_unused:UNUSED_PAD src0_sel:WORD_0 src1_sel:DWORD
	v_add_lshl_u32 v5, v5, v133, 4
	ds_write_b128 v5, v[20:23]
	ds_write_b128 v5, v[52:55] offset:192
	v_add_lshl_u32 v21, v4, v135, 4
	buffer_store_dword v5, off, s[36:39], 0 offset:748 ; 4-byte Folded Spill
	ds_write_b128 v5, v[56:59] offset:384
	v_add_f64 v[4:5], v[36:37], v[16:17]
	v_fma_f64 v[78:79], v[10:11], s[0:1], v[8:9]
	v_mad_u16 v20, v136, 36, v137
	ds_write_b128 v21, v[12:15]
	v_mad_u16 v13, v138, 36, v139
	v_mov_b32_e32 v12, 4
	v_mad_u16 v14, v140, 36, v90
	ds_write_b128 v21, v[61:64] offset:192
	buffer_store_dword v21, off, s[36:39], 0 offset:744 ; 4-byte Folded Spill
	v_lshlrev_b32_sdwa v15, v12, v20 dst_sel:DWORD dst_unused:UNUSED_PAD src0_sel:DWORD src1_sel:WORD_0
	v_lshlrev_b32_sdwa v13, v12, v13 dst_sel:DWORD dst_unused:UNUSED_PAD src0_sel:DWORD src1_sel:WORD_0
	buffer_store_dword v14, off, s[36:39], 0 offset:716 ; 4-byte Folded Spill
	ds_write_b128 v21, v[65:68] offset:384
	ds_write_b128 v15, v[24:27]
	ds_write_b128 v15, v[69:72] offset:192
	buffer_store_dword v15, off, s[36:39], 0 offset:768 ; 4-byte Folded Spill
	ds_write_b128 v15, v[80:83] offset:384
	ds_write_b128 v13, v[96:99]
	ds_write_b128 v13, v[104:107] offset:192
	buffer_store_dword v13, off, s[36:39], 0 offset:724 ; 4-byte Folded Spill
	ds_write_b128 v13, v[108:111] offset:384
	v_fma_f64 v[4:5], v[4:5], -0.5, v[0:1]
	v_fma_f64 v[76:77], v[6:7], s[4:5], v[4:5]
	s_and_saveexec_b32 s4, vcc_lo
	s_cbranch_execz .LBB0_9
; %bb.8:
	v_add_f64 v[0:1], v[0:1], v[36:37]
	v_mul_f64 v[20:21], v[6:7], s[0:1]
	v_mul_f64 v[10:11], v[10:11], s[0:1]
	v_add_f64 v[13:14], v[2:3], v[38:39]
	v_add_f64 v[6:7], v[0:1], v[16:17]
	;; [unrolled: 1-line block ×3, first 2 shown]
	buffer_load_dword v4, off, s[36:39], 0 offset:716 ; 4-byte Folded Reload
	v_add_f64 v[2:3], v[8:9], -v[10:11]
	v_add_f64 v[8:9], v[13:14], v[18:19]
	s_waitcnt vmcnt(0)
	v_lshlrev_b32_sdwa v4, v12, v4 dst_sel:DWORD dst_unused:UNUSED_PAD src0_sel:DWORD src1_sel:WORD_0
	ds_write_b128 v4, v[6:9]
	ds_write_b128 v4, v[0:3] offset:192
	ds_write_b128 v4, v[76:79] offset:384
.LBB0_9:
	s_or_b32 exec_lo, exec_lo, s4
	v_add_co_u32 v0, s0, 0xffffffdc, v177
	v_add_co_ci_u32_e64 v1, null, 0, -1, s0
	v_cmp_gt_u16_e64 s0, 36, v177
	s_waitcnt lgkmcnt(0)
	s_waitcnt_vscnt null, 0x0
	s_barrier
	buffer_gl0_inv
	v_mul_lo_u16 v2, v95, 57
	v_cndmask_b32_e64 v20, v0, v177, s0
	v_cndmask_b32_e64 v21, v1, 0, s0
	s_mov_b32 s16, 0x134454ff
	s_mov_b32 s17, 0x3fee6f0e
	v_lshrrev_b16 v22, 11, v2
	s_mov_b32 s19, 0xbfee6f0e
	v_lshlrev_b64 v[0:1], 6, v[20:21]
	s_mov_b32 s18, s16
	s_mov_b32 s4, 0x4755a5e
	v_mul_lo_u16 v2, v22, 36
	s_mov_b32 s5, 0x3fe2cf23
	s_mov_b32 s7, 0xbfe2cf23
	v_add_co_u32 v0, s0, s14, v0
	v_add_co_ci_u32_e64 v1, s0, s15, v1, s0
	v_sub_nc_u16 v2, v89, v2
	s_mov_b32 s6, s4
	s_mov_b32 s20, 0x372fe950
	s_clause 0x2
	global_load_dwordx4 v[200:203], v[0:1], off offset:544
	global_load_dwordx4 v[129:132], v[0:1], off offset:560
	;; [unrolled: 1-line block ×3, first 2 shown]
	v_and_b32_e32 v21, 0xff, v2
	v_mul_lo_u16 v2, v93, 57
	global_load_dwordx4 v[204:207], v[0:1], off offset:592
	s_mov_b32 s21, 0x3fd3c6ef
	v_cmp_lt_u16_e64 s0, 35, v177
	v_lshlrev_b32_e32 v3, 6, v21
	v_lshrrev_b16 v23, 11, v2
	s_clause 0x1
	global_load_dwordx4 v[120:123], v3, s[14:15] offset:544
	global_load_dwordx4 v[91:94], v3, s[14:15] offset:560
	v_mul_lo_u16 v0, v23, 36
	global_load_dwordx4 v[95:98], v3, s[14:15] offset:576
	v_sub_nc_u16 v0, v128, v0
	v_and_b32_e32 v24, 0xff, v0
	v_lshlrev_b32_e32 v0, 6, v24
	s_clause 0x4
	global_load_dwordx4 v[104:107], v3, s[14:15] offset:592
	global_load_dwordx4 v[108:111], v0, s[14:15] offset:544
	global_load_dwordx4 v[112:115], v0, s[14:15] offset:560
	global_load_dwordx4 v[116:119], v0, s[14:15] offset:576
	global_load_dwordx4 v[71:74], v0, s[14:15] offset:592
	ds_read_b128 v[16:19], v176 offset:4032
	ds_read_b128 v[12:15], v176 offset:8064
	;; [unrolled: 1-line block ×9, first 2 shown]
	s_waitcnt vmcnt(10) lgkmcnt(7)
	v_mul_f64 v[45:46], v[14:15], v[131:132]
	v_mul_f64 v[41:42], v[18:19], v[202:203]
	;; [unrolled: 1-line block ×4, first 2 shown]
	s_waitcnt vmcnt(9) lgkmcnt(6)
	v_mul_f64 v[49:50], v[10:11], v[82:83]
	v_mul_f64 v[51:52], v[8:9], v[82:83]
	s_waitcnt vmcnt(8) lgkmcnt(5)
	v_mul_f64 v[55:56], v[4:5], v[206:207]
	v_mul_f64 v[53:54], v[6:7], v[206:207]
	;; [unrolled: 3-line block ×3, first 2 shown]
	s_waitcnt vmcnt(6) lgkmcnt(3)
	v_mul_f64 v[63:64], v[27:28], v[93:94]
	s_waitcnt vmcnt(5) lgkmcnt(2)
	v_mul_f64 v[67:68], v[31:32], v[97:98]
	v_mul_f64 v[65:66], v[25:26], v[93:94]
	;; [unrolled: 1-line block ×3, first 2 shown]
	v_fma_f64 v[45:46], v[12:13], v[129:130], -v[45:46]
	v_fma_f64 v[41:42], v[16:17], v[200:201], -v[41:42]
	v_fma_f64 v[43:44], v[18:19], v[200:201], v[43:44]
	ds_read_b128 v[16:19], v176 offset:10080
	buffer_store_dword v129, off, s[36:39], 0 offset:860 ; 4-byte Folded Spill
	buffer_store_dword v130, off, s[36:39], 0 offset:864 ; 4-byte Folded Spill
	;; [unrolled: 1-line block ×4, first 2 shown]
	v_fma_f64 v[49:50], v[8:9], v[80:81], -v[49:50]
	v_fma_f64 v[89:90], v[6:7], v[204:205], v[55:56]
	s_waitcnt vmcnt(4) lgkmcnt(2)
	v_mul_f64 v[6:7], v[33:34], v[106:107]
	v_fma_f64 v[56:57], v[0:1], v[120:121], -v[57:58]
	v_fma_f64 v[47:48], v[14:15], v[129:130], v[47:48]
	ds_read_b128 v[12:15], v176 offset:7056
	buffer_store_dword v80, off, s[36:39], 0 offset:808 ; 4-byte Folded Spill
	buffer_store_dword v81, off, s[36:39], 0 offset:812 ; 4-byte Folded Spill
	;; [unrolled: 1-line block ×4, first 2 shown]
	v_fma_f64 v[82:83], v[4:5], v[204:205], -v[53:54]
	v_mul_f64 v[4:5], v[35:36], v[106:107]
	s_waitcnt vmcnt(3) lgkmcnt(2)
	v_mul_f64 v[53:54], v[37:38], v[110:111]
	v_fma_f64 v[80:81], v[10:11], v[80:81], v[51:52]
	ds_read_b128 v[8:11], v176 offset:11088
	buffer_store_dword v120, off, s[36:39], 0 offset:840 ; 4-byte Folded Spill
	buffer_store_dword v121, off, s[36:39], 0 offset:844 ; 4-byte Folded Spill
	;; [unrolled: 1-line block ×4, first 2 shown]
	v_mul_f64 v[51:52], v[39:40], v[110:111]
	v_fma_f64 v[58:59], v[2:3], v[120:121], v[61:62]
	v_fma_f64 v[61:62], v[25:26], v[91:92], -v[63:64]
	buffer_store_dword v91, off, s[36:39], 0 offset:792 ; 4-byte Folded Spill
	buffer_store_dword v92, off, s[36:39], 0 offset:796 ; 4-byte Folded Spill
	;; [unrolled: 1-line block ×4, first 2 shown]
	v_fma_f64 v[93:94], v[29:30], v[95:96], -v[67:68]
	buffer_store_dword v95, off, s[36:39], 0 offset:772 ; 4-byte Folded Spill
	buffer_store_dword v96, off, s[36:39], 0 offset:776 ; 4-byte Folded Spill
	;; [unrolled: 1-line block ×4, first 2 shown]
	ds_read_b128 v[0:3], v176 offset:14112
	v_fma_f64 v[97:98], v[33:34], v[104:105], -v[4:5]
	buffer_store_dword v104, off, s[36:39], 0 offset:752 ; 4-byte Folded Spill
	buffer_store_dword v105, off, s[36:39], 0 offset:756 ; 4-byte Folded Spill
	;; [unrolled: 1-line block ×4, first 2 shown]
	s_waitcnt vmcnt(2) lgkmcnt(3)
	v_mul_f64 v[25:26], v[18:19], v[114:115]
	v_fma_f64 v[106:107], v[37:38], v[108:109], -v[51:52]
	v_add_f64 v[33:34], v[43:44], -v[89:90]
	v_add_f64 v[37:38], v[41:42], -v[82:83]
	s_waitcnt vmcnt(1) lgkmcnt(0)
	v_mul_f64 v[29:30], v[2:3], v[118:119]
	v_add_f64 v[139:140], v[61:62], -v[93:94]
	v_fma_f64 v[91:92], v[27:28], v[91:92], v[65:66]
	v_mul_f64 v[27:28], v[16:17], v[114:115]
	v_fma_f64 v[95:96], v[31:32], v[95:96], v[69:70]
	v_mul_f64 v[31:32], v[0:1], v[118:119]
	v_fma_f64 v[104:105], v[35:36], v[104:105], v[6:7]
	ds_read_b128 v[4:7], v176 offset:15120
	buffer_store_dword v108, off, s[36:39], 0 offset:728 ; 4-byte Folded Spill
	buffer_store_dword v109, off, s[36:39], 0 offset:732 ; 4-byte Folded Spill
	;; [unrolled: 1-line block ×4, first 2 shown]
	v_fma_f64 v[110:111], v[16:17], v[112:113], -v[25:26]
	buffer_store_dword v112, off, s[36:39], 0 offset:700 ; 4-byte Folded Spill
	buffer_store_dword v113, off, s[36:39], 0 offset:704 ; 4-byte Folded Spill
	;; [unrolled: 1-line block ×4, first 2 shown]
	v_fma_f64 v[114:115], v[0:1], v[116:117], -v[29:30]
	v_add_f64 v[35:36], v[47:48], -v[80:81]
	v_fma_f64 v[108:109], v[39:40], v[108:109], v[53:54]
	v_add_f64 v[39:40], v[45:46], -v[49:50]
	v_fma_f64 v[112:113], v[18:19], v[112:113], v[27:28]
	ds_read_b128 v[16:19], v176 offset:18144
	buffer_store_dword v116, off, s[36:39], 0 offset:684 ; 4-byte Folded Spill
	buffer_store_dword v117, off, s[36:39], 0 offset:688 ; 4-byte Folded Spill
	;; [unrolled: 1-line block ×4, first 2 shown]
	ds_read_b128 v[25:28], v176 offset:19152
	s_waitcnt vmcnt(0) lgkmcnt(1)
	v_mul_f64 v[0:1], v[18:19], v[73:74]
	v_fma_f64 v[118:119], v[16:17], v[71:72], -v[0:1]
	v_mul_f64 v[0:1], v[16:17], v[73:74]
	buffer_store_dword v71, off, s[36:39], 0 offset:668 ; 4-byte Folded Spill
	buffer_store_dword v72, off, s[36:39], 0 offset:672 ; 4-byte Folded Spill
	;; [unrolled: 1-line block ×4, first 2 shown]
	v_fma_f64 v[116:117], v[2:3], v[116:117], v[31:32]
	v_fma_f64 v[16:17], v[18:19], v[71:72], v[0:1]
	v_mul_lo_u16 v0, v60, 57
	v_lshrrev_b16 v1, 11, v0
	v_mul_lo_u16 v0, v1, 36
	v_sub_nc_u16 v0, v88, v0
	v_and_b32_e32 v0, 0xff, v0
	v_lshlrev_b32_e32 v18, 6, v0
	s_clause 0x3
	global_load_dwordx4 v[72:75], v18, s[14:15] offset:544
	global_load_dwordx4 v[64:67], v18, s[14:15] offset:560
	global_load_dwordx4 v[68:71], v18, s[14:15] offset:576
	global_load_dwordx4 v[52:55], v18, s[14:15] offset:592
	v_add_f64 v[18:19], v[45:46], v[49:50]
	s_waitcnt vmcnt(3)
	v_mul_f64 v[2:3], v[14:15], v[74:75]
	v_fma_f64 v[120:121], v[12:13], v[72:73], -v[2:3]
	v_mul_f64 v[2:3], v[12:13], v[74:75]
	v_fma_f64 v[14:15], v[14:15], v[72:73], v[2:3]
	s_waitcnt vmcnt(2)
	v_mul_f64 v[2:3], v[10:11], v[66:67]
	v_fma_f64 v[122:123], v[8:9], v[64:65], -v[2:3]
	v_mul_f64 v[2:3], v[8:9], v[66:67]
	v_fma_f64 v[129:130], v[10:11], v[64:65], v[2:3]
	s_waitcnt vmcnt(1)
	v_mul_f64 v[2:3], v[6:7], v[70:71]
	v_fma_f64 v[131:132], v[4:5], v[68:69], -v[2:3]
	v_mul_f64 v[2:3], v[4:5], v[70:71]
	v_add_f64 v[4:5], v[82:83], -v[49:50]
	v_fma_f64 v[133:134], v[6:7], v[68:69], v[2:3]
	s_waitcnt vmcnt(0) lgkmcnt(0)
	v_mul_f64 v[2:3], v[27:28], v[54:55]
	v_fma_f64 v[135:136], v[25:26], v[52:53], -v[2:3]
	v_mul_f64 v[2:3], v[25:26], v[54:55]
	v_add_f64 v[25:26], v[47:48], v[80:81]
	v_fma_f64 v[137:138], v[27:28], v[52:53], v[2:3]
	v_add_f64 v[2:3], v[41:42], -v[45:46]
	v_add_f64 v[10:11], v[2:3], v[4:5]
	v_add_f64 v[2:3], v[43:44], -v[47:48]
	v_add_f64 v[4:5], v[89:90], -v[80:81]
	v_add_f64 v[12:13], v[2:3], v[4:5]
	ds_read_b128 v[2:5], v176
	ds_read_b128 v[6:9], v176 offset:1008
	s_waitcnt lgkmcnt(1)
	v_fma_f64 v[18:19], v[18:19], -0.5, v[2:3]
	v_fma_f64 v[29:30], v[25:26], -0.5, v[4:5]
	v_fma_f64 v[25:26], v[33:34], s[16:17], v[18:19]
	v_fma_f64 v[27:28], v[37:38], s[18:19], v[29:30]
	;; [unrolled: 1-line block ×12, first 2 shown]
	v_add_f64 v[10:11], v[41:42], v[82:83]
	v_add_f64 v[12:13], v[43:44], v[89:90]
	v_add_f64 v[18:19], v[45:46], -v[41:42]
	v_fma_f64 v[10:11], v[10:11], -0.5, v[2:3]
	v_fma_f64 v[12:13], v[12:13], -0.5, v[4:5]
	v_add_f64 v[2:3], v[2:3], v[41:42]
	v_add_f64 v[4:5], v[4:5], v[43:44]
	v_add_f64 v[41:42], v[47:48], -v[43:44]
	v_add_f64 v[43:44], v[49:50], -v[82:83]
	v_add_f64 v[2:3], v[2:3], v[45:46]
	v_add_f64 v[4:5], v[4:5], v[47:48]
	v_fma_f64 v[47:48], v[35:36], s[18:19], v[10:11]
	v_fma_f64 v[10:11], v[35:36], s[16:17], v[10:11]
	v_add_f64 v[45:46], v[80:81], -v[89:90]
	v_fma_f64 v[35:36], v[39:40], s[16:17], v[12:13]
	v_fma_f64 v[12:13], v[39:40], s[18:19], v[12:13]
	v_add_f64 v[18:19], v[18:19], v[43:44]
	v_add_f64 v[2:3], v[2:3], v[49:50]
	v_add_f64 v[4:5], v[4:5], v[80:81]
	v_add_f64 v[80:81], v[58:59], -v[104:105]
	v_fma_f64 v[10:11], v[33:34], s[6:7], v[10:11]
	v_add_f64 v[39:40], v[41:42], v[45:46]
	v_fma_f64 v[41:42], v[33:34], s[4:5], v[47:48]
	v_fma_f64 v[35:36], v[37:38], s[6:7], v[35:36]
	;; [unrolled: 1-line block ×3, first 2 shown]
	v_add_f64 v[2:3], v[2:3], v[82:83]
	v_add_f64 v[4:5], v[4:5], v[89:90]
	v_add_f64 v[88:89], v[56:57], -v[97:98]
	v_fma_f64 v[37:38], v[18:19], s[20:21], v[10:11]
	v_cndmask_b32_e64 v10, 0, 0xb4, s0
	v_fma_f64 v[33:34], v[18:19], s[20:21], v[41:42]
	v_fma_f64 v[35:36], v[39:40], s[20:21], v[35:36]
	;; [unrolled: 1-line block ×3, first 2 shown]
	v_add_f64 v[82:83], v[91:92], -v[95:96]
	v_add_lshl_u32 v20, v20, v10, 4
	ds_read_b128 v[10:13], v176 offset:2016
	ds_read_b128 v[41:44], v176 offset:3024
	s_waitcnt lgkmcnt(0)
	s_waitcnt_vscnt null, 0x0
	s_barrier
	buffer_gl0_inv
	v_cmp_gt_u16_e64 s0, 54, v177
	ds_write_b128 v20, v[2:5]
	v_add_f64 v[2:3], v[56:57], -v[61:62]
	v_add_f64 v[4:5], v[97:98], -v[93:94]
	ds_write_b128 v20, v[25:28] offset:576
	ds_write_b128 v20, v[33:36] offset:1152
	;; [unrolled: 1-line block ×3, first 2 shown]
	buffer_store_dword v20, off, s[36:39], 0 offset:856 ; 4-byte Folded Spill
	ds_write_b128 v20, v[29:32] offset:2304
	v_add_f64 v[18:19], v[2:3], v[4:5]
	v_add_f64 v[2:3], v[58:59], -v[91:92]
	v_add_f64 v[4:5], v[104:105], -v[95:96]
	v_add_f64 v[47:48], v[2:3], v[4:5]
	v_add_f64 v[2:3], v[61:62], v[93:94]
	v_fma_f64 v[45:46], v[2:3], -0.5, v[6:7]
	v_add_f64 v[2:3], v[91:92], v[95:96]
	v_fma_f64 v[49:50], v[2:3], -0.5, v[8:9]
	v_fma_f64 v[2:3], v[80:81], s[16:17], v[45:46]
	v_fma_f64 v[45:46], v[80:81], s[18:19], v[45:46]
	;; [unrolled: 1-line block ×10, first 2 shown]
	v_add_f64 v[18:19], v[56:57], v[97:98]
	v_fma_f64 v[4:5], v[47:48], s[20:21], v[4:5]
	v_fma_f64 v[47:48], v[47:48], s[20:21], v[49:50]
	v_add_f64 v[49:50], v[58:59], v[104:105]
	v_fma_f64 v[18:19], v[18:19], -0.5, v[6:7]
	v_add_f64 v[6:7], v[6:7], v[56:57]
	v_add_f64 v[56:57], v[61:62], -v[56:57]
	v_fma_f64 v[49:50], v[49:50], -0.5, v[8:9]
	v_add_f64 v[8:9], v[8:9], v[58:59]
	v_add_f64 v[58:59], v[91:92], -v[58:59]
	v_add_f64 v[6:7], v[6:7], v[61:62]
	v_add_f64 v[60:61], v[93:94], -v[97:98]
	v_add_f64 v[62:63], v[95:96], -v[104:105]
	v_add_f64 v[8:9], v[8:9], v[91:92]
	v_fma_f64 v[90:91], v[82:83], s[18:19], v[18:19]
	v_fma_f64 v[18:19], v[82:83], s[16:17], v[18:19]
	;; [unrolled: 1-line block ×4, first 2 shown]
	v_add_f64 v[60:61], v[56:57], v[60:61]
	v_add_f64 v[62:63], v[58:59], v[62:63]
	;; [unrolled: 1-line block ×3, first 2 shown]
	v_add_f64 v[139:140], v[110:111], -v[114:115]
	v_add_f64 v[8:9], v[8:9], v[95:96]
	v_fma_f64 v[56:57], v[80:81], s[4:5], v[90:91]
	v_fma_f64 v[18:19], v[80:81], s[6:7], v[18:19]
	;; [unrolled: 1-line block ×4, first 2 shown]
	v_add_f64 v[80:81], v[16:17], -v[116:117]
	v_add_f64 v[82:83], v[112:113], v[116:117]
	v_add_f64 v[88:89], v[108:109], -v[16:17]
	v_add_f64 v[94:95], v[106:107], -v[118:119]
	v_add_f64 v[6:7], v[6:7], v[97:98]
	v_add_f64 v[90:91], v[112:113], -v[116:117]
	v_add_f64 v[8:9], v[8:9], v[104:105]
	v_fma_f64 v[56:57], v[60:61], s[20:21], v[56:57]
	v_fma_f64 v[60:61], v[60:61], s[20:21], v[18:19]
	;; [unrolled: 1-line block ×4, first 2 shown]
	v_add_f64 v[18:19], v[106:107], -v[110:111]
	v_add_f64 v[49:50], v[118:119], -v[114:115]
	v_fma_f64 v[82:83], v[82:83], -0.5, v[12:13]
	v_add_f64 v[18:19], v[18:19], v[49:50]
	v_add_f64 v[49:50], v[108:109], -v[112:113]
	v_fma_f64 v[96:97], v[94:95], s[18:19], v[82:83]
	v_fma_f64 v[82:83], v[94:95], s[16:17], v[82:83]
	v_add_f64 v[49:50], v[49:50], v[80:81]
	v_add_f64 v[80:81], v[110:111], v[114:115]
	v_fma_f64 v[98:99], v[139:140], s[6:7], v[96:97]
	v_fma_f64 v[82:83], v[139:140], s[4:5], v[82:83]
	v_fma_f64 v[80:81], v[80:81], -0.5, v[10:11]
	v_fma_f64 v[98:99], v[49:50], s[20:21], v[98:99]
	v_fma_f64 v[246:247], v[49:50], s[20:21], v[82:83]
	v_add_f64 v[49:50], v[108:109], v[16:17]
	v_add_f64 v[82:83], v[112:113], -v[108:109]
	v_fma_f64 v[92:93], v[88:89], s[16:17], v[80:81]
	v_fma_f64 v[80:81], v[88:89], s[18:19], v[80:81]
	v_fma_f64 v[49:50], v[49:50], -0.5, v[12:13]
	v_add_f64 v[12:13], v[12:13], v[108:109]
	v_fma_f64 v[92:93], v[90:91], s[4:5], v[92:93]
	v_fma_f64 v[80:81], v[90:91], s[6:7], v[80:81]
	v_add_f64 v[12:13], v[12:13], v[112:113]
	v_fma_f64 v[96:97], v[18:19], s[20:21], v[92:93]
	v_fma_f64 v[244:245], v[18:19], s[20:21], v[80:81]
	v_add_f64 v[18:19], v[106:107], v[118:119]
	v_add_f64 v[80:81], v[110:111], -v[106:107]
	v_add_f64 v[12:13], v[12:13], v[116:117]
	v_add_f64 v[92:93], v[114:115], -v[118:119]
	v_fma_f64 v[18:19], v[18:19], -0.5, v[10:11]
	v_add_f64 v[10:11], v[10:11], v[106:107]
	v_add_f64 v[106:107], v[12:13], v[16:17]
	;; [unrolled: 1-line block ×3, first 2 shown]
	v_add_f64 v[92:93], v[129:130], -v[133:134]
	v_fma_f64 v[12:13], v[90:91], s[18:19], v[18:19]
	v_add_f64 v[10:11], v[10:11], v[110:111]
	v_fma_f64 v[12:13], v[88:89], s[4:5], v[12:13]
	v_add_f64 v[10:11], v[10:11], v[114:115]
	;; [unrolled: 2-line block ×3, first 2 shown]
	v_add_f64 v[10:11], v[116:117], -v[16:17]
	v_fma_f64 v[16:17], v[90:91], s[16:17], v[18:19]
	v_fma_f64 v[18:19], v[139:140], s[16:17], v[49:50]
	;; [unrolled: 1-line block ×3, first 2 shown]
	v_add_f64 v[12:13], v[131:132], -v[135:136]
	v_add_f64 v[116:117], v[122:123], -v[131:132]
	v_add_f64 v[118:119], v[120:121], -v[135:136]
	v_add_f64 v[10:11], v[82:83], v[10:11]
	v_fma_f64 v[16:17], v[88:89], s[6:7], v[16:17]
	v_fma_f64 v[18:19], v[94:95], s[6:7], v[18:19]
	;; [unrolled: 1-line block ×3, first 2 shown]
	v_add_f64 v[94:95], v[14:15], -v[137:138]
	v_fma_f64 v[112:113], v[80:81], s[20:21], v[16:17]
	v_fma_f64 v[110:111], v[10:11], s[20:21], v[18:19]
	;; [unrolled: 1-line block ×3, first 2 shown]
	v_add_f64 v[10:11], v[122:123], -v[120:121]
	v_add_f64 v[16:17], v[133:134], -v[137:138]
	v_add_f64 v[10:11], v[10:11], v[12:13]
	v_add_f64 v[12:13], v[129:130], -v[14:15]
	v_add_f64 v[12:13], v[12:13], v[16:17]
	v_add_f64 v[16:17], v[120:121], v[135:136]
	v_fma_f64 v[49:50], v[16:17], -0.5, v[41:42]
	v_add_f64 v[16:17], v[14:15], v[137:138]
	v_fma_f64 v[80:81], v[16:17], -0.5, v[43:44]
	v_fma_f64 v[16:17], v[92:93], s[18:19], v[49:50]
	v_fma_f64 v[49:50], v[92:93], s[16:17], v[49:50]
	;; [unrolled: 1-line block ×10, first 2 shown]
	v_add_f64 v[10:11], v[122:123], v[131:132]
	v_add_f64 v[49:50], v[120:121], -v[122:123]
	v_fma_f64 v[18:19], v[12:13], s[20:21], v[18:19]
	v_fma_f64 v[82:83], v[12:13], s[20:21], v[82:83]
	v_add_f64 v[12:13], v[129:130], v[133:134]
	v_fma_f64 v[10:11], v[10:11], -0.5, v[41:42]
	v_add_f64 v[41:42], v[41:42], v[120:121]
	v_add_f64 v[120:121], v[135:136], -v[131:132]
	v_fma_f64 v[12:13], v[12:13], -0.5, v[43:44]
	v_add_f64 v[43:44], v[43:44], v[14:15]
	v_add_f64 v[14:15], v[14:15], -v[129:130]
	v_add_f64 v[41:42], v[41:42], v[122:123]
	v_add_f64 v[49:50], v[49:50], v[120:121]
	;; [unrolled: 1-line block ×6, first 2 shown]
	v_add_f64 v[41:42], v[137:138], -v[133:134]
	v_add_f64 v[90:91], v[43:44], v[137:138]
	v_fma_f64 v[43:44], v[94:95], s[16:17], v[10:11]
	v_fma_f64 v[10:11], v[94:95], s[18:19], v[10:11]
	;; [unrolled: 1-line block ×4, first 2 shown]
	v_add_f64 v[14:15], v[14:15], v[41:42]
	v_fma_f64 v[41:42], v[92:93], s[4:5], v[43:44]
	v_fma_f64 v[10:11], v[92:93], s[6:7], v[10:11]
	;; [unrolled: 1-line block ×6, first 2 shown]
	v_mov_b32_e32 v10, 0xb4
	v_fma_f64 v[94:95], v[14:15], s[20:21], v[43:44]
	v_fma_f64 v[14:15], v[14:15], s[20:21], v[116:117]
	v_mul_u32_u24_sdwa v11, v22, v10 dst_sel:DWORD dst_unused:UNUSED_PAD src0_sel:WORD_0 src1_sel:DWORD
	v_mul_u32_u24_sdwa v1, v1, v10 dst_sel:DWORD dst_unused:UNUSED_PAD src0_sel:WORD_0 src1_sel:DWORD
	v_add_lshl_u32 v11, v11, v21, 4
	ds_write_b128 v11, v[6:9]
	ds_write_b128 v11, v[2:5] offset:576
	v_mul_u32_u24_sdwa v2, v23, v10 dst_sel:DWORD dst_unused:UNUSED_PAD src0_sel:WORD_0 src1_sel:DWORD
	v_add_lshl_u32 v0, v1, v0, 4
	ds_write_b128 v11, v[56:59] offset:1152
	ds_write_b128 v11, v[60:63] offset:1728
	buffer_store_dword v11, off, s[36:39], 0 offset:880 ; 4-byte Folded Spill
	v_add_lshl_u32 v2, v2, v24, 4
	ds_write_b128 v11, v[45:48] offset:2304
	ds_write_b128 v2, v[104:107]
	ds_write_b128 v2, v[96:99] offset:576
	ds_write_b128 v2, v[108:111] offset:1152
	;; [unrolled: 1-line block ×3, first 2 shown]
	buffer_store_dword v2, off, s[36:39], 0 offset:876 ; 4-byte Folded Spill
	ds_write_b128 v2, v[244:247] offset:2304
	ds_write_b128 v0, v[88:91]
	ds_write_b128 v0, v[92:95] offset:576
	ds_write_b128 v0, v[16:19] offset:1152
	;; [unrolled: 1-line block ×3, first 2 shown]
	buffer_store_dword v0, off, s[36:39], 0 offset:884 ; 4-byte Folded Spill
	ds_write_b128 v0, v[12:15] offset:2304
	s_waitcnt lgkmcnt(0)
	s_waitcnt_vscnt null, 0x0
	s_barrier
	buffer_gl0_inv
	ds_read_b128 v[0:3], v176
	ds_read_b128 v[248:251], v176 offset:1008
	ds_read_b128 v[48:51], v176 offset:2880
	;; [unrolled: 1-line block ×13, first 2 shown]
	s_and_saveexec_b32 s1, s0
	s_cbranch_execz .LBB0_11
; %bb.10:
	ds_read_b128 v[244:247], v176 offset:2016
	ds_read_b128 v[88:91], v176 offset:4896
	;; [unrolled: 1-line block ×7, first 2 shown]
.LBB0_11:
	s_or_b32 exec_lo, exec_lo, s1
	v_mad_u64_u32 v[129:130], null, 0x60, v177, s[14:15]
	v_mov_b32_e32 v181, v177
	s_mov_b32 s22, 0x37e14327
	s_mov_b32 s18, 0xe976ee23
	;; [unrolled: 1-line block ×5, first 2 shown]
	v_add_co_u32 v24, s1, 0xb20, v129
	v_add_co_ci_u32_e64 v25, s1, 0, v130, s1
	v_add_co_u32 v116, s1, 0x800, v129
	v_add_co_ci_u32_e64 v117, s1, 0, v130, s1
	s_mov_b32 s5, 0x3febfeb5
	s_mov_b32 s24, 0xaaaaaaaa
	s_clause 0x3
	global_load_dwordx4 v[20:23], v[116:117], off offset:800
	global_load_dwordx4 v[4:7], v[24:25], off offset:48
	;; [unrolled: 1-line block ×4, first 2 shown]
	s_mov_b32 s6, 0x5476071b
	s_mov_b32 s26, 0xb247c609
	;; [unrolled: 1-line block ×11, first 2 shown]
	s_waitcnt vmcnt(3) lgkmcnt(11)
	v_mul_f64 v[118:119], v[50:51], v[22:23]
	v_fma_f64 v[152:153], v[48:49], v[20:21], -v[118:119]
	v_mul_f64 v[48:49], v[48:49], v[22:23]
	v_fma_f64 v[154:155], v[50:51], v[20:21], v[48:49]
	s_waitcnt vmcnt(0) lgkmcnt(9)
	v_mul_f64 v[48:49], v[46:47], v[26:27]
	v_fma_f64 v[156:157], v[44:45], v[24:25], -v[48:49]
	v_mul_f64 v[44:45], v[44:45], v[26:27]
	v_fma_f64 v[158:159], v[46:47], v[24:25], v[44:45]
	s_waitcnt lgkmcnt(7)
	v_mul_f64 v[44:45], v[42:43], v[10:11]
	v_fma_f64 v[160:161], v[40:41], v[8:9], -v[44:45]
	v_mul_f64 v[40:41], v[40:41], v[10:11]
	v_fma_f64 v[162:163], v[42:43], v[8:9], v[40:41]
	s_waitcnt lgkmcnt(5)
	v_mul_f64 v[40:41], v[38:39], v[6:7]
	v_fma_f64 v[164:165], v[36:37], v[4:5], -v[40:41]
	v_mul_f64 v[36:37], v[36:37], v[6:7]
	v_fma_f64 v[166:167], v[38:39], v[4:5], v[36:37]
	v_add_co_u32 v36, s1, 0xb60, v129
	v_add_co_ci_u32_e64 v37, s1, 0, v130, s1
	s_clause 0x1
	global_load_dwordx4 v[40:43], v[116:117], off offset:864
	global_load_dwordx4 v[48:51], v[36:37], off offset:16
	v_add_co_u32 v44, s1, 0x22c0, v129
	v_add_co_ci_u32_e64 v45, s1, 0, v130, s1
	v_add_co_u32 v131, s1, 0x2000, v129
	v_add_co_ci_u32_e64 v132, s1, 0, v130, s1
	s_waitcnt vmcnt(1) lgkmcnt(3)
	v_mul_f64 v[36:37], v[34:35], v[42:43]
	v_fma_f64 v[168:169], v[32:33], v[40:41], -v[36:37]
	v_mul_f64 v[32:33], v[32:33], v[42:43]
	v_fma_f64 v[170:171], v[34:35], v[40:41], v[32:33]
	s_waitcnt vmcnt(0) lgkmcnt(1)
	v_mul_f64 v[32:33], v[30:31], v[50:51]
	v_fma_f64 v[172:173], v[28:29], v[48:49], -v[32:33]
	v_mul_f64 v[28:29], v[28:29], v[50:51]
	v_fma_f64 v[174:175], v[30:31], v[48:49], v[28:29]
	s_clause 0x3
	global_load_dwordx4 v[28:31], v[131:132], off offset:704
	global_load_dwordx4 v[32:35], v[44:45], off offset:48
	;; [unrolled: 1-line block ×4, first 2 shown]
	s_waitcnt vmcnt(3)
	v_mul_f64 v[116:117], v[114:115], v[30:31]
	v_fma_f64 v[118:119], v[112:113], v[28:29], -v[116:117]
	v_mul_f64 v[112:113], v[112:113], v[30:31]
	v_fma_f64 v[122:123], v[114:115], v[28:29], v[112:113]
	s_waitcnt vmcnt(0)
	v_mul_f64 v[112:113], v[110:111], v[46:47]
	v_fma_f64 v[112:113], v[108:109], v[44:45], -v[112:113]
	v_mul_f64 v[108:109], v[108:109], v[46:47]
	v_fma_f64 v[114:115], v[110:111], v[44:45], v[108:109]
	v_mul_f64 v[108:109], v[62:63], v[38:39]
	v_fma_f64 v[108:109], v[60:61], v[36:37], -v[108:109]
	v_mul_f64 v[60:61], v[60:61], v[38:39]
	v_fma_f64 v[110:111], v[62:63], v[36:37], v[60:61]
	v_mul_f64 v[60:61], v[58:59], v[34:35]
	v_fma_f64 v[116:117], v[56:57], v[32:33], -v[60:61]
	v_mul_f64 v[56:57], v[56:57], v[34:35]
	v_add_co_u32 v60, s1, 0x2300, v129
	v_add_co_ci_u32_e64 v61, s1, 0, v130, s1
	v_fma_f64 v[120:121], v[58:59], v[32:33], v[56:57]
	s_clause 0x1
	global_load_dwordx4 v[56:59], v[131:132], off offset:768
	global_load_dwordx4 v[60:63], v[60:61], off offset:16
	s_waitcnt vmcnt(1)
	v_mul_f64 v[129:130], v[106:107], v[58:59]
	v_fma_f64 v[150:151], v[104:105], v[56:57], -v[129:130]
	v_mul_f64 v[104:105], v[104:105], v[58:59]
	v_fma_f64 v[104:105], v[106:107], v[56:57], v[104:105]
	s_waitcnt vmcnt(0) lgkmcnt(0)
	v_mul_f64 v[106:107], v[98:99], v[62:63]
	v_fma_f64 v[106:107], v[96:97], v[60:61], -v[106:107]
	v_mul_f64 v[96:97], v[96:97], v[62:63]
	v_fma_f64 v[96:97], v[98:99], v[60:61], v[96:97]
	v_subrev_nc_u32_e32 v98, 54, v177
	v_cndmask_b32_e64 v98, v98, v128, s0
	v_mul_hi_i32_i24_e32 v99, 0x60, v98
	v_mul_i32_i24_e32 v98, 0x60, v98
	v_add_co_u32 v146, s1, s14, v98
	v_add_co_ci_u32_e64 v147, s1, s15, v99, s1
	s_mov_b32 s14, 0x36b3c0b5
	v_add_co_u32 v98, s1, 0xb20, v146
	v_add_co_ci_u32_e64 v99, s1, 0, v147, s1
	v_add_co_u32 v144, s1, 0x800, v146
	v_add_co_ci_u32_e64 v145, s1, 0, v147, s1
	s_clause 0x3
	global_load_dwordx4 v[128:131], v[144:145], off offset:800
	global_load_dwordx4 v[252:255], v[98:99], off offset:48
	;; [unrolled: 1-line block ×4, first 2 shown]
	s_mov_b32 s15, 0x3fac98ee
	s_waitcnt vmcnt(3)
	v_mul_f64 v[98:99], v[90:91], v[130:131]
	v_fma_f64 v[142:143], v[88:89], v[128:129], -v[98:99]
	v_mul_f64 v[88:89], v[88:89], v[130:131]
	buffer_store_dword v128, off, s[36:39], 0 offset:928 ; 4-byte Folded Spill
	buffer_store_dword v129, off, s[36:39], 0 offset:932 ; 4-byte Folded Spill
	;; [unrolled: 1-line block ×4, first 2 shown]
	v_add_f64 v[98:99], v[166:167], -v[162:163]
	v_fma_f64 v[130:131], v[90:91], v[128:129], v[88:89]
	s_waitcnt vmcnt(0)
	v_mul_f64 v[88:89], v[94:95], v[134:135]
	v_fma_f64 v[136:137], v[92:93], v[132:133], -v[88:89]
	v_mul_f64 v[88:89], v[92:93], v[134:135]
	buffer_store_dword v132, off, s[36:39], 0 offset:944 ; 4-byte Folded Spill
	buffer_store_dword v133, off, s[36:39], 0 offset:948 ; 4-byte Folded Spill
	;; [unrolled: 1-line block ×4, first 2 shown]
	v_add_f64 v[92:93], v[162:163], v[166:167]
	v_fma_f64 v[138:139], v[94:95], v[132:133], v[88:89]
	v_mul_f64 v[88:89], v[18:19], v[179:180]
	v_add_f64 v[94:95], v[164:165], -v[160:161]
	v_fma_f64 v[132:133], v[16:17], v[177:178], -v[88:89]
	v_mul_f64 v[16:17], v[16:17], v[179:180]
	buffer_store_dword v177, off, s[36:39], 0 offset:912 ; 4-byte Folded Spill
	buffer_store_dword v178, off, s[36:39], 0 offset:916 ; 4-byte Folded Spill
	;; [unrolled: 1-line block ×4, first 2 shown]
	v_fma_f64 v[134:135], v[18:19], v[177:178], v[16:17]
	v_mul_f64 v[16:17], v[82:83], v[254:255]
	v_add_f64 v[18:19], v[154:155], -v[174:175]
	v_fma_f64 v[140:141], v[80:81], v[252:253], -v[16:17]
	v_mul_f64 v[16:17], v[80:81], v[254:255]
	buffer_store_dword v252, off, s[36:39], 0 offset:896 ; 4-byte Folded Spill
	buffer_store_dword v253, off, s[36:39], 0 offset:900 ; 4-byte Folded Spill
	buffer_store_dword v254, off, s[36:39], 0 offset:904 ; 4-byte Folded Spill
	buffer_store_dword v255, off, s[36:39], 0 offset:908 ; 4-byte Folded Spill
	v_fma_f64 v[128:129], v[82:83], v[252:253], v[16:17]
	v_add_co_u32 v16, s1, 0xb60, v146
	v_add_co_ci_u32_e64 v17, s1, 0, v147, s1
	s_clause 0x1
	global_load_dwordx4 v[80:83], v[144:145], off offset:864
	global_load_dwordx4 v[88:91], v[16:17], off offset:16
	s_waitcnt vmcnt(1)
	v_mul_f64 v[16:17], v[14:15], v[82:83]
	v_fma_f64 v[144:145], v[12:13], v[80:81], -v[16:17]
	v_mul_f64 v[12:13], v[12:13], v[82:83]
	buffer_store_dword v80, off, s[36:39], 0 offset:960 ; 4-byte Folded Spill
	buffer_store_dword v81, off, s[36:39], 0 offset:964 ; 4-byte Folded Spill
	;; [unrolled: 1-line block ×4, first 2 shown]
	v_add_f64 v[16:17], v[152:153], -v[172:173]
	v_add_f64 v[82:83], v[156:157], -v[168:169]
	v_fma_f64 v[146:147], v[14:15], v[80:81], v[12:13]
	s_waitcnt vmcnt(0)
	v_mul_f64 v[12:13], v[78:79], v[90:91]
	v_add_f64 v[14:15], v[154:155], v[174:175]
	v_add_f64 v[80:81], v[158:159], v[170:171]
	v_fma_f64 v[148:149], v[76:77], v[88:89], -v[12:13]
	v_mul_f64 v[12:13], v[76:77], v[90:91]
	buffer_store_dword v88, off, s[36:39], 0 offset:976 ; 4-byte Folded Spill
	buffer_store_dword v89, off, s[36:39], 0 offset:980 ; 4-byte Folded Spill
	;; [unrolled: 1-line block ×4, first 2 shown]
	v_add_f64 v[90:91], v[160:161], v[164:165]
	v_add_f64 v[154:155], v[80:81], v[14:15]
	;; [unrolled: 1-line block ×3, first 2 shown]
	v_add_f64 v[164:165], v[94:95], -v[82:83]
	v_add_f64 v[82:83], v[82:83], -v[16:17]
	;; [unrolled: 1-line block ×3, first 2 shown]
	v_add_f64 v[16:17], v[160:161], v[16:17]
	v_mul_f64 v[160:161], v[82:83], s[4:5]
	v_fma_f64 v[76:77], v[78:79], v[88:89], v[12:13]
	v_add_f64 v[12:13], v[152:153], v[172:173]
	v_add_f64 v[78:79], v[156:157], v[168:169]
	v_add_f64 v[88:89], v[158:159], -v[170:171]
	v_add_f64 v[158:159], v[80:81], -v[14:15]
	;; [unrolled: 1-line block ×4, first 2 shown]
	v_add_f64 v[92:93], v[92:93], v[154:155]
	v_add_f64 v[152:153], v[78:79], v[12:13]
	v_add_f64 v[156:157], v[78:79], -v[12:13]
	v_add_f64 v[12:13], v[12:13], -v[90:91]
	;; [unrolled: 1-line block ×3, first 2 shown]
	v_add_f64 v[162:163], v[98:99], v[88:89]
	v_add_f64 v[166:167], v[98:99], -v[88:89]
	v_add_f64 v[88:89], v[88:89], -v[18:19]
	;; [unrolled: 1-line block ×3, first 2 shown]
	v_add_f64 v[254:255], v[2:3], v[92:93]
	v_mul_f64 v[2:3], v[14:15], s[22:23]
	v_mul_f64 v[14:15], v[80:81], s[14:15]
	v_add_f64 v[90:91], v[90:91], v[152:153]
	v_mul_f64 v[152:153], v[164:165], s[18:19]
	v_add_f64 v[18:19], v[162:163], v[18:19]
	v_mul_f64 v[154:155], v[166:167], s[18:19]
	v_mul_f64 v[162:163], v[88:89], s[4:5]
	v_fma_f64 v[92:93], v[92:93], s[24:25], v[254:255]
	v_fma_f64 v[80:81], v[80:81], s[14:15], v[2:3]
	v_fma_f64 v[14:15], v[158:159], s[6:7], -v[14:15]
	v_fma_f64 v[2:3], v[158:159], s[16:17], -v[2:3]
	v_add_f64 v[252:253], v[0:1], v[90:91]
	v_mul_f64 v[0:1], v[12:13], s[22:23]
	v_mul_f64 v[12:13], v[78:79], s[14:15]
	v_fma_f64 v[82:83], v[82:83], s[4:5], -v[152:153]
	v_fma_f64 v[158:159], v[98:99], s[26:27], v[154:155]
	v_fma_f64 v[88:89], v[88:89], s[4:5], -v[154:155]
	v_fma_f64 v[98:99], v[98:99], s[28:29], -v[162:163]
	v_add_f64 v[154:155], v[14:15], v[92:93]
	v_fma_f64 v[90:91], v[90:91], s[24:25], v[252:253]
	v_fma_f64 v[78:79], v[78:79], s[14:15], v[0:1]
	v_fma_f64 v[12:13], v[156:157], s[6:7], -v[12:13]
	v_fma_f64 v[0:1], v[156:157], s[16:17], -v[0:1]
	v_fma_f64 v[156:157], v[94:95], s[26:27], v[152:153]
	v_fma_f64 v[94:95], v[94:95], s[28:29], -v[160:161]
	v_add_f64 v[152:153], v[80:81], v[92:93]
	v_add_f64 v[92:93], v[2:3], v[92:93]
	v_fma_f64 v[158:159], v[18:19], s[20:21], v[158:159]
	v_fma_f64 v[88:89], v[18:19], s[20:21], v[88:89]
	;; [unrolled: 1-line block ×4, first 2 shown]
	v_add_f64 v[78:79], v[78:79], v[90:91]
	v_add_f64 v[80:81], v[12:13], v[90:91]
	;; [unrolled: 1-line block ×3, first 2 shown]
	v_fma_f64 v[156:157], v[16:17], s[20:21], v[156:157]
	v_fma_f64 v[94:95], v[16:17], s[20:21], v[94:95]
	v_add_f64 v[18:19], v[82:83], v[154:155]
	v_add_f64 v[82:83], v[154:155], -v[82:83]
	v_add_f64 v[0:1], v[158:159], v[78:79]
	v_add_f64 v[16:17], v[80:81], -v[88:89]
	v_add_f64 v[12:13], v[98:99], v[90:91]
	v_add_f64 v[80:81], v[88:89], v[80:81]
	v_add_f64 v[14:15], v[92:93], -v[94:95]
	v_add_f64 v[88:89], v[90:91], -v[98:99]
	v_add_f64 v[90:91], v[94:95], v[92:93]
	v_add_f64 v[92:93], v[78:79], -v[158:159]
	v_add_f64 v[78:79], v[118:119], v[106:107]
	v_add_f64 v[98:99], v[122:123], v[96:97]
	v_add_f64 v[106:107], v[118:119], -v[106:107]
	v_add_f64 v[96:97], v[122:123], -v[96:97]
	v_add_f64 v[118:119], v[112:113], v[150:151]
	v_add_f64 v[122:123], v[114:115], v[104:105]
	v_add_f64 v[112:113], v[112:113], -v[150:151]
	;; [unrolled: 4-line block ×3, first 2 shown]
	v_add_f64 v[110:111], v[120:121], -v[110:111]
	v_add_f64 v[2:3], v[152:153], -v[156:157]
	v_add_f64 v[94:95], v[156:157], v[152:153]
	v_add_f64 v[116:117], v[118:119], v[78:79]
	;; [unrolled: 1-line block ×3, first 2 shown]
	v_add_f64 v[152:153], v[118:119], -v[78:79]
	v_add_f64 v[154:155], v[122:123], -v[98:99]
	;; [unrolled: 1-line block ×6, first 2 shown]
	v_add_f64 v[122:123], v[108:109], v[112:113]
	v_add_f64 v[158:159], v[110:111], v[104:105]
	v_add_f64 v[160:161], v[108:109], -v[112:113]
	v_add_f64 v[162:163], v[110:111], -v[104:105]
	;; [unrolled: 1-line block ×6, first 2 shown]
	v_add_f64 v[114:115], v[114:115], v[116:117]
	v_add_f64 v[116:117], v[150:151], v[120:121]
	v_mul_f64 v[78:79], v[78:79], s[22:23]
	v_mul_f64 v[98:99], v[98:99], s[22:23]
	;; [unrolled: 1-line block ×3, first 2 shown]
	v_add_f64 v[106:107], v[122:123], v[106:107]
	v_add_f64 v[96:97], v[158:159], v[96:97]
	v_mul_f64 v[158:159], v[156:157], s[14:15]
	v_mul_f64 v[160:161], v[160:161], s[18:19]
	;; [unrolled: 1-line block ×5, first 2 shown]
	v_add_f64 v[120:121], v[248:249], v[114:115]
	v_add_f64 v[122:123], v[250:251], v[116:117]
	v_fma_f64 v[118:119], v[118:119], s[14:15], v[78:79]
	v_fma_f64 v[156:157], v[156:157], s[14:15], v[98:99]
	v_fma_f64 v[150:151], v[152:153], s[6:7], -v[150:151]
	v_fma_f64 v[78:79], v[152:153], s[16:17], -v[78:79]
	;; [unrolled: 1-line block ×4, first 2 shown]
	v_fma_f64 v[152:153], v[108:109], s[26:27], v[160:161]
	v_fma_f64 v[154:155], v[110:111], s[26:27], v[162:163]
	v_fma_f64 v[104:105], v[104:105], s[4:5], -v[162:163]
	v_fma_f64 v[112:113], v[112:113], s[4:5], -v[160:161]
	;; [unrolled: 1-line block ×4, first 2 shown]
	v_fma_f64 v[114:115], v[114:115], s[24:25], v[120:121]
	v_fma_f64 v[116:117], v[116:117], s[24:25], v[122:123]
	;; [unrolled: 1-line block ×8, first 2 shown]
	v_add_f64 v[160:161], v[118:119], v[114:115]
	v_add_f64 v[156:157], v[156:157], v[116:117]
	;; [unrolled: 1-line block ×7, first 2 shown]
	v_add_f64 v[118:119], v[156:157], -v[152:153]
	v_add_f64 v[108:109], v[150:151], -v[104:105]
	v_add_f64 v[104:105], v[104:105], v[150:151]
	v_add_f64 v[248:249], v[160:161], -v[154:155]
	v_add_f64 v[250:251], v[152:153], v[156:157]
	v_add_f64 v[150:151], v[142:143], v[148:149]
	;; [unrolled: 1-line block ×3, first 2 shown]
	v_add_f64 v[148:149], v[142:143], -v[148:149]
	v_add_f64 v[142:143], v[136:137], v[144:145]
	v_add_f64 v[154:155], v[138:139], v[146:147]
	;; [unrolled: 1-line block ×4, first 2 shown]
	v_add_f64 v[106:107], v[158:159], -v[162:163]
	v_add_f64 v[96:97], v[78:79], -v[96:97]
	;; [unrolled: 1-line block ×5, first 2 shown]
	v_add_f64 v[76:77], v[132:133], v[140:141]
	v_add_f64 v[78:79], v[134:135], v[128:129]
	v_add_f64 v[140:141], v[140:141], -v[132:133]
	v_add_f64 v[146:147], v[128:129], -v[134:135]
	;; [unrolled: 1-line block ×3, first 2 shown]
	v_add_f64 v[98:99], v[164:165], v[98:99]
	ds_write_b128 v176, v[252:255]
	ds_write_b128 v176, v[0:3] offset:2880
	ds_write_b128 v176, v[12:15] offset:5760
	;; [unrolled: 1-line block ×13, first 2 shown]
	v_add_f64 v[156:157], v[142:143], v[150:151]
	v_add_f64 v[158:159], v[154:155], v[152:153]
	v_add_f64 v[160:161], v[150:151], -v[76:77]
	v_add_f64 v[162:163], v[152:153], -v[78:79]
	;; [unrolled: 1-line block ×4, first 2 shown]
	v_add_f64 v[164:165], v[140:141], v[144:145]
	v_add_f64 v[166:167], v[146:147], v[136:137]
	v_add_f64 v[138:139], v[140:141], -v[144:145]
	v_add_f64 v[132:133], v[146:147], -v[136:137]
	;; [unrolled: 1-line block ×4, first 2 shown]
	v_add_f64 v[76:77], v[76:77], v[156:157]
	v_add_f64 v[78:79], v[78:79], v[158:159]
	v_mul_f64 v[172:173], v[162:163], s[22:23]
	v_add_f64 v[170:171], v[164:165], v[148:149]
	v_add_f64 v[168:169], v[166:167], v[130:131]
	v_mul_f64 v[164:165], v[160:161], s[22:23]
	v_mul_f64 v[174:175], v[140:141], s[26:27]
	;; [unrolled: 1-line block ×3, first 2 shown]
	v_add_f64 v[244:245], v[244:245], v[76:77]
	v_add_f64 v[246:247], v[246:247], v[78:79]
	v_fma_f64 v[146:147], v[138:139], s[18:19], v[174:175]
	v_fma_f64 v[178:179], v[132:133], s[18:19], v[166:167]
	;; [unrolled: 1-line block ×8, first 2 shown]
	v_add_f64 v[140:141], v[76:77], v[160:161]
	v_add_f64 v[156:157], v[78:79], v[162:163]
	v_add_f64 v[76:77], v[140:141], -v[146:147]
	v_add_f64 v[78:79], v[158:159], v[156:157]
	s_and_saveexec_b32 s1, s0
	s_cbranch_execz .LBB0_13
; %bb.12:
	v_add_f64 v[0:1], v[144:145], -v[148:149]
	v_add_f64 v[2:3], v[154:155], -v[152:153]
	v_mul_f64 v[12:13], v[134:135], s[14:15]
	v_mul_f64 v[14:15], v[138:139], s[18:19]
	v_add_f64 v[16:17], v[142:143], -v[150:151]
	v_add_f64 v[18:19], v[136:137], -v[130:131]
	v_mul_f64 v[80:81], v[128:129], s[14:15]
	v_mul_f64 v[82:83], v[132:133], s[18:19]
	s_mov_b32 s15, 0xbfebfeb5
	s_mov_b32 s14, s4
	v_mul_f64 v[88:89], v[170:171], s[20:21]
	v_mul_f64 v[90:91], v[168:169], s[20:21]
	v_fma_f64 v[92:93], v[0:1], s[14:15], -v[174:175]
	v_fma_f64 v[94:95], v[2:3], s[16:17], -v[172:173]
	;; [unrolled: 1-line block ×8, first 2 shown]
	v_add_f64 v[80:81], v[88:89], v[92:93]
	v_add_f64 v[92:93], v[94:95], v[162:163]
	;; [unrolled: 1-line block ×8, first 2 shown]
	v_add_f64 v[2:3], v[156:157], -v[158:159]
	v_add_f64 v[0:1], v[146:147], v[140:141]
	v_add_f64 v[90:91], v[92:93], -v[80:81]
	v_add_f64 v[14:15], v[80:81], v[92:93]
	;; [unrolled: 2-line block ×3, first 2 shown]
	v_add_f64 v[88:89], v[94:95], v[12:13]
	v_add_f64 v[12:13], v[12:13], -v[94:95]
	v_add_f64 v[80:81], v[16:17], -v[96:97]
	v_add_f64 v[16:17], v[96:97], v[16:17]
	ds_write_b128 v176, v[244:247] offset:2016
	ds_write_b128 v176, v[0:3] offset:4896
	;; [unrolled: 1-line block ×7, first 2 shown]
.LBB0_13:
	s_or_b32 exec_lo, exec_lo, s1
	v_mov_b32_e32 v177, v181
	s_waitcnt lgkmcnt(0)
	s_waitcnt_vscnt null, 0x0
	s_barrier
	buffer_gl0_inv
	v_lshlrev_b32_e32 v0, 4, v177
	v_add_co_u32 v110, s1, s12, v0
	v_add_co_ci_u32_e64 v111, null, s13, 0, s1
	v_add_co_u32 v0, s1, 0x4800, v110
	v_add_co_ci_u32_e64 v1, s1, 0, v111, s1
	v_add_co_u32 v108, s1, 0x7000, v110
	v_add_co_ci_u32_e64 v109, s1, 0, v111, s1
	global_load_dwordx4 v[0:3], v[0:1], off offset:1728
	v_add_co_u32 v88, s1, 0x4ec0, v110
	global_load_dwordx4 v[12:15], v[108:109], off offset:1568
	v_add_co_ci_u32_e64 v89, s1, 0, v111, s1
	v_add_co_u32 v92, s1, 0x7800, v110
	v_add_co_ci_u32_e64 v93, s1, 0, v111, s1
	s_clause 0x3
	global_load_dwordx4 v[16:19], v[88:89], off offset:1008
	global_load_dwordx4 v[80:83], v[92:93], off offset:528
	;; [unrolled: 1-line block ×4, first 2 shown]
	v_add_co_u32 v112, s1, 0x5800, v110
	v_add_co_ci_u32_e64 v113, s1, 0, v111, s1
	v_add_co_u32 v116, s1, 0x8000, v110
	v_add_co_ci_u32_e64 v117, s1, 0, v111, s1
	s_clause 0x3
	global_load_dwordx4 v[96:99], v[112:113], off offset:656
	global_load_dwordx4 v[104:107], v[116:117], off offset:496
	;; [unrolled: 1-line block ×4, first 2 shown]
	v_add_co_u32 v132, s1, 0x6000, v110
	v_add_co_ci_u32_e64 v133, s1, 0, v111, s1
	v_add_co_u32 v152, s1, 0x8800, v110
	v_add_co_ci_u32_e64 v153, s1, 0, v111, s1
	s_clause 0x2
	global_load_dwordx4 v[120:123], v[132:133], off offset:624
	global_load_dwordx4 v[128:131], v[152:153], off offset:464
	;; [unrolled: 1-line block ×3, first 2 shown]
	ds_read_b128 v[136:139], v176
	ds_read_b128 v[140:143], v176 offset:1008
	global_load_dwordx4 v[144:147], v[108:109], off offset:560
	ds_read_b128 v[148:151], v176 offset:10080
	v_add_co_u32 v160, s1, 0x6800, v110
	v_add_co_ci_u32_e64 v161, s1, 0, v111, s1
	s_waitcnt vmcnt(13) lgkmcnt(2)
	v_mul_f64 v[108:109], v[138:139], v[2:3]
	v_mul_f64 v[2:3], v[136:137], v[2:3]
	v_fma_f64 v[136:137], v[136:137], v[0:1], -v[108:109]
	v_fma_f64 v[138:139], v[138:139], v[0:1], v[2:3]
	ds_read_b128 v[0:3], v176 offset:11088
	s_waitcnt vmcnt(12) lgkmcnt(1)
	v_mul_f64 v[108:109], v[150:151], v[14:15]
	v_mul_f64 v[14:15], v[148:149], v[14:15]
	v_fma_f64 v[148:149], v[148:149], v[12:13], -v[108:109]
	v_fma_f64 v[150:151], v[150:151], v[12:13], v[14:15]
	s_waitcnt vmcnt(11)
	v_mul_f64 v[12:13], v[142:143], v[18:19]
	v_mul_f64 v[14:15], v[140:141], v[18:19]
	s_waitcnt vmcnt(10) lgkmcnt(0)
	v_mul_f64 v[108:109], v[2:3], v[82:83]
	v_mul_f64 v[82:83], v[0:1], v[82:83]
	v_fma_f64 v[12:13], v[140:141], v[16:17], -v[12:13]
	v_fma_f64 v[14:15], v[142:143], v[16:17], v[14:15]
	ds_read_b128 v[16:19], v176 offset:2016
	ds_read_b128 v[140:143], v176 offset:3024
	v_fma_f64 v[0:1], v[0:1], v[80:81], -v[108:109]
	v_fma_f64 v[2:3], v[2:3], v[80:81], v[82:83]
	ds_read_b128 v[80:83], v176 offset:12096
	s_waitcnt vmcnt(9) lgkmcnt(2)
	v_mul_f64 v[108:109], v[18:19], v[90:91]
	v_mul_f64 v[90:91], v[16:17], v[90:91]
	v_fma_f64 v[16:17], v[16:17], v[88:89], -v[108:109]
	v_fma_f64 v[18:19], v[18:19], v[88:89], v[90:91]
	ds_read_b128 v[88:91], v176 offset:13104
	s_waitcnt vmcnt(8) lgkmcnt(1)
	v_mul_f64 v[108:109], v[82:83], v[94:95]
	v_mul_f64 v[94:95], v[80:81], v[94:95]
	s_waitcnt vmcnt(6) lgkmcnt(0)
	v_mul_f64 v[154:155], v[90:91], v[106:107]
	v_mul_f64 v[156:157], v[88:89], v[106:107]
	v_fma_f64 v[80:81], v[80:81], v[92:93], -v[108:109]
	v_fma_f64 v[82:83], v[82:83], v[92:93], v[94:95]
	v_mul_f64 v[92:93], v[142:143], v[98:99]
	v_mul_f64 v[94:95], v[140:141], v[98:99]
	v_fma_f64 v[88:89], v[88:89], v[104:105], -v[154:155]
	v_fma_f64 v[90:91], v[90:91], v[104:105], v[156:157]
	v_fma_f64 v[92:93], v[140:141], v[96:97], -v[92:93]
	v_fma_f64 v[94:95], v[142:143], v[96:97], v[94:95]
	ds_read_b128 v[96:99], v176 offset:4032
	ds_read_b128 v[106:109], v176 offset:5040
	;; [unrolled: 1-line block ×3, first 2 shown]
	s_waitcnt vmcnt(5) lgkmcnt(2)
	v_mul_f64 v[104:105], v[98:99], v[114:115]
	v_mul_f64 v[114:115], v[96:97], v[114:115]
	v_fma_f64 v[96:97], v[96:97], v[112:113], -v[104:105]
	v_fma_f64 v[98:99], v[98:99], v[112:113], v[114:115]
	ds_read_b128 v[112:115], v176 offset:15120
	s_waitcnt vmcnt(4) lgkmcnt(1)
	v_mul_f64 v[104:105], v[142:143], v[118:119]
	v_mul_f64 v[118:119], v[140:141], v[118:119]
	s_waitcnt vmcnt(2) lgkmcnt(0)
	v_mul_f64 v[154:155], v[114:115], v[130:131]
	v_mul_f64 v[130:131], v[112:113], v[130:131]
	v_fma_f64 v[140:141], v[140:141], v[116:117], -v[104:105]
	v_fma_f64 v[142:143], v[142:143], v[116:117], v[118:119]
	v_mul_f64 v[104:105], v[108:109], v[122:123]
	v_mul_f64 v[116:117], v[106:107], v[122:123]
	v_fma_f64 v[112:113], v[112:113], v[128:129], -v[154:155]
	v_fma_f64 v[114:115], v[114:115], v[128:129], v[130:131]
	v_fma_f64 v[104:105], v[106:107], v[120:121], -v[104:105]
	v_fma_f64 v[106:107], v[108:109], v[120:121], v[116:117]
	ds_read_b128 v[116:119], v176 offset:6048
	ds_read_b128 v[120:123], v176 offset:7056
	global_load_dwordx4 v[128:131], v[152:153], off offset:1472
	s_waitcnt vmcnt(2) lgkmcnt(1)
	v_mul_f64 v[108:109], v[118:119], v[134:135]
	v_mul_f64 v[134:135], v[116:117], v[134:135]
	v_fma_f64 v[116:117], v[116:117], v[132:133], -v[108:109]
	v_fma_f64 v[118:119], v[118:119], v[132:133], v[134:135]
	global_load_dwordx4 v[132:135], v[160:161], off offset:592
	ds_read_b128 v[152:155], v176 offset:16128
	ds_read_b128 v[156:159], v176 offset:17136
	s_waitcnt vmcnt(1) lgkmcnt(1)
	v_mul_f64 v[108:109], v[154:155], v[130:131]
	v_mul_f64 v[130:131], v[152:153], v[130:131]
	v_fma_f64 v[152:153], v[152:153], v[128:129], -v[108:109]
	v_fma_f64 v[154:155], v[154:155], v[128:129], v[130:131]
	s_waitcnt vmcnt(0)
	v_mul_f64 v[108:109], v[122:123], v[134:135]
	v_mul_f64 v[128:129], v[120:121], v[134:135]
	v_fma_f64 v[120:121], v[120:121], v[132:133], -v[108:109]
	v_add_co_u32 v108, s1, 0x9000, v110
	v_add_co_ci_u32_e64 v109, s1, 0, v111, s1
	v_fma_f64 v[122:123], v[122:123], v[132:133], v[128:129]
	s_clause 0x1
	global_load_dwordx4 v[128:131], v[108:109], off offset:432
	global_load_dwordx4 v[132:135], v[160:161], off offset:1600
	s_waitcnt vmcnt(1) lgkmcnt(0)
	v_mul_f64 v[160:161], v[158:159], v[130:131]
	v_mul_f64 v[130:131], v[156:157], v[130:131]
	v_fma_f64 v[156:157], v[156:157], v[128:129], -v[160:161]
	v_fma_f64 v[158:159], v[158:159], v[128:129], v[130:131]
	ds_read_b128 v[128:131], v176 offset:8064
	ds_read_b128 v[160:163], v176 offset:9072
	s_waitcnt vmcnt(0) lgkmcnt(1)
	v_mul_f64 v[164:165], v[130:131], v[134:135]
	v_mul_f64 v[134:135], v[128:129], v[134:135]
	v_fma_f64 v[128:129], v[128:129], v[132:133], -v[164:165]
	v_fma_f64 v[130:131], v[130:131], v[132:133], v[134:135]
	v_add_co_u32 v132, s1, 0x9800, v110
	v_add_co_ci_u32_e64 v133, s1, 0, v111, s1
	s_clause 0x1
	global_load_dwordx4 v[108:111], v[108:109], off offset:1440
	global_load_dwordx4 v[132:135], v[132:133], off offset:400
	ds_read_b128 v[164:167], v176 offset:18144
	ds_read_b128 v[168:171], v176 offset:19152
	s_waitcnt vmcnt(1) lgkmcnt(1)
	v_mul_f64 v[172:173], v[166:167], v[110:111]
	v_mul_f64 v[110:111], v[164:165], v[110:111]
	v_fma_f64 v[164:165], v[164:165], v[108:109], -v[172:173]
	v_fma_f64 v[166:167], v[166:167], v[108:109], v[110:111]
	v_mul_f64 v[108:109], v[162:163], v[146:147]
	v_mul_f64 v[110:111], v[160:161], v[146:147]
	v_fma_f64 v[108:109], v[160:161], v[144:145], -v[108:109]
	v_fma_f64 v[110:111], v[162:163], v[144:145], v[110:111]
	s_waitcnt vmcnt(0) lgkmcnt(0)
	v_mul_f64 v[144:145], v[170:171], v[134:135]
	v_mul_f64 v[134:135], v[168:169], v[134:135]
	v_lshlrev_b32_e32 v160, 5, v177
	v_fma_f64 v[144:145], v[168:169], v[132:133], -v[144:145]
	v_fma_f64 v[146:147], v[170:171], v[132:133], v[134:135]
	ds_write_b128 v176, v[136:139]
	ds_write_b128 v176, v[148:151] offset:10080
	ds_write_b128 v176, v[12:15] offset:1008
	;; [unrolled: 1-line block ×19, first 2 shown]
	s_waitcnt lgkmcnt(0)
	s_barrier
	buffer_gl0_inv
	ds_read_b128 v[0:3], v176 offset:10080
	ds_read_b128 v[12:15], v176
	ds_read_b128 v[16:19], v176 offset:1008
	ds_read_b128 v[80:83], v176 offset:11088
	;; [unrolled: 1-line block ×18, first 2 shown]
	s_waitcnt lgkmcnt(0)
	s_barrier
	buffer_gl0_inv
	v_add_f64 v[0:1], v[12:13], -v[0:1]
	v_add_f64 v[2:3], v[14:15], -v[2:3]
	;; [unrolled: 1-line block ×20, first 2 shown]
	v_fma_f64 v[12:13], v[12:13], 2.0, -v[0:1]
	v_fma_f64 v[14:15], v[14:15], 2.0, -v[2:3]
	ds_write_b128 v160, v[0:3] offset:16
	ds_write_b128 v160, v[12:15]
	buffer_load_dword v0, off, s[36:39], 0 offset:476 ; 4-byte Folded Reload
	v_fma_f64 v[16:17], v[16:17], 2.0, -v[80:81]
	v_fma_f64 v[18:19], v[18:19], 2.0, -v[82:83]
	;; [unrolled: 1-line block ×18, first 2 shown]
	s_waitcnt vmcnt(0)
	ds_write_b128 v0, v[16:19]
	ds_write_b128 v0, v[80:83] offset:16
	buffer_load_dword v0, off, s[36:39], 0 offset:472 ; 4-byte Folded Reload
	s_waitcnt vmcnt(0)
	ds_write_b128 v0, v[92:95]
	ds_write_b128 v0, v[88:91] offset:16
	buffer_load_dword v0, off, s[36:39], 0 offset:468 ; 4-byte Folded Reload
	;; [unrolled: 4-line block ×8, first 2 shown]
	s_waitcnt vmcnt(0)
	ds_write_b128 v0, v[152:155]
	ds_write_b128 v0, v[156:159] offset:16
	s_waitcnt lgkmcnt(0)
	s_barrier
	buffer_gl0_inv
	ds_read_b128 v[0:3], v176 offset:13104
	ds_read_b128 v[12:15], v176 offset:11088
	;; [unrolled: 1-line block ×8, first 2 shown]
	s_clause 0x3
	buffer_load_dword v170, off, s[36:39], 0 offset:400
	buffer_load_dword v171, off, s[36:39], 0 offset:404
	;; [unrolled: 1-line block ×4, first 2 shown]
	ds_read_b128 v[108:111], v176
	ds_read_b128 v[112:115], v176 offset:1008
	ds_read_b128 v[116:119], v176 offset:18144
	;; [unrolled: 1-line block ×3, first 2 shown]
	s_clause 0x3
	buffer_load_dword v244, off, s[36:39], 0 offset:332
	buffer_load_dword v245, off, s[36:39], 0 offset:336
	;; [unrolled: 1-line block ×4, first 2 shown]
	ds_read_b128 v[128:131], v176 offset:2016
	ds_read_b128 v[132:135], v176 offset:3024
	s_clause 0x3
	buffer_load_dword v250, off, s[36:39], 0 offset:376
	buffer_load_dword v251, off, s[36:39], 0 offset:380
	;; [unrolled: 1-line block ×4, first 2 shown]
	s_waitcnt lgkmcnt(11)
	v_mul_f64 v[144:145], v[86:87], v[18:19]
	s_waitcnt lgkmcnt(10)
	v_mul_f64 v[148:149], v[86:87], v[82:83]
	;; [unrolled: 2-line block ×3, first 2 shown]
	v_mul_f64 v[146:147], v[86:87], v[16:17]
	s_waitcnt lgkmcnt(7)
	v_mul_f64 v[160:161], v[86:87], v[98:99]
	v_mul_f64 v[150:151], v[86:87], v[80:81]
	;; [unrolled: 1-line block ×4, first 2 shown]
	s_waitcnt vmcnt(8)
	v_mul_f64 v[136:137], v[172:173], v[2:3]
	v_mul_f64 v[138:139], v[172:173], v[0:1]
	s_waitcnt vmcnt(4)
	v_mul_f64 v[140:141], v[246:247], v[14:15]
	v_mul_f64 v[142:143], v[246:247], v[12:13]
	s_clause 0x3
	buffer_load_dword v246, off, s[36:39], 0 offset:356
	buffer_load_dword v247, off, s[36:39], 0 offset:360
	;; [unrolled: 1-line block ×4, first 2 shown]
	s_waitcnt vmcnt(4)
	v_mul_f64 v[156:157], v[252:253], v[94:95]
	s_waitcnt lgkmcnt(3)
	v_mul_f64 v[172:173], v[86:87], v[118:119]
	v_mul_f64 v[158:159], v[252:253], v[92:93]
	;; [unrolled: 1-line block ×3, first 2 shown]
	v_fma_f64 v[168:169], v[170:171], v[0:1], v[136:137]
	s_clause 0x1
	buffer_load_dword v0, off, s[36:39], 0 offset:428
	buffer_load_dword v1, off, s[36:39], 0 offset:432
	v_fma_f64 v[170:171], v[170:171], v[2:3], -v[138:139]
	s_waitcnt vmcnt(2)
	v_mul_f64 v[164:165], v[248:249], v[106:107]
	v_mul_f64 v[166:167], v[248:249], v[104:105]
	s_waitcnt vmcnt(0) lgkmcnt(2)
	v_mul_f64 v[174:175], v[0:1], v[122:123]
	v_mul_f64 v[178:179], v[0:1], v[120:121]
	s_clause 0x1
	buffer_load_dword v0, off, s[36:39], 0 offset:420
	buffer_load_dword v1, off, s[36:39], 0 offset:424
	s_waitcnt vmcnt(0)
	v_fma_f64 v[12:13], v[0:1], v[12:13], v[140:141]
	v_fma_f64 v[140:141], v[84:85], v[16:17], v[144:145]
	;; [unrolled: 1-line block ×9, first 2 shown]
	v_fma_f64 v[14:15], v[0:1], v[14:15], -v[142:143]
	v_fma_f64 v[142:143], v[84:85], v[18:19], -v[146:147]
	ds_read_b128 v[0:3], v176 offset:4032
	ds_read_b128 v[16:19], v176 offset:5040
	v_fma_f64 v[146:147], v[84:85], v[82:83], -v[150:151]
	ds_read_b128 v[80:83], v176 offset:6048
	ds_read_b128 v[136:139], v176 offset:7056
	v_fma_f64 v[150:151], v[84:85], v[90:91], -v[154:155]
	v_fma_f64 v[154:155], v[250:251], v[94:95], -v[158:159]
	v_fma_f64 v[158:159], v[84:85], v[98:99], -v[162:163]
	v_fma_f64 v[162:163], v[246:247], v[106:107], -v[166:167]
	v_fma_f64 v[166:167], v[84:85], v[118:119], -v[86:87]
	ds_read_b128 v[84:87], v176 offset:8064
	ds_read_b128 v[88:91], v176 offset:9072
	s_waitcnt lgkmcnt(0)
	v_add_f64 v[96:97], v[112:113], -v[12:13]
	s_barrier
	v_add_f64 v[104:105], v[128:129], -v[144:145]
	buffer_gl0_inv
	v_add_f64 v[92:93], v[108:109], -v[140:141]
	v_add_f64 v[116:117], v[132:133], -v[168:169]
	;; [unrolled: 1-line block ×3, first 2 shown]
	v_fma_f64 v[174:175], v[244:245], v[122:123], -v[178:179]
	v_add_f64 v[120:121], v[0:1], -v[148:149]
	v_add_f64 v[98:99], v[114:115], -v[14:15]
	;; [unrolled: 1-line block ×14, first 2 shown]
	v_fma_f64 v[112:113], v[112:113], 2.0, -v[96:97]
	v_fma_f64 v[128:129], v[128:129], 2.0, -v[104:105]
	;; [unrolled: 1-line block ×5, first 2 shown]
	v_add_f64 v[14:15], v[90:91], -v[174:175]
	v_fma_f64 v[156:157], v[0:1], 2.0, -v[120:121]
	v_fma_f64 v[114:115], v[114:115], 2.0, -v[98:99]
	;; [unrolled: 1-line block ×11, first 2 shown]
	buffer_load_dword v88, off, s[36:39], 0 offset:328 ; 4-byte Folded Reload
	v_fma_f64 v[138:139], v[138:139], 2.0, -v[150:151]
	v_fma_f64 v[84:85], v[84:85], 2.0, -v[152:153]
	;; [unrolled: 1-line block ×3, first 2 shown]
	s_waitcnt vmcnt(0)
	ds_write_b128 v88, v[92:95] offset:32
	ds_write_b128 v88, v[108:111]
	buffer_load_dword v88, off, s[36:39], 0 offset:416 ; 4-byte Folded Reload
	v_fma_f64 v[2:3], v[90:91], 2.0, -v[14:15]
	s_waitcnt vmcnt(0)
	ds_write_b128 v88, v[112:115]
	ds_write_b128 v88, v[96:99] offset:32
	buffer_load_dword v88, off, s[36:39], 0 offset:396 ; 4-byte Folded Reload
	s_waitcnt vmcnt(0)
	ds_write_b128 v88, v[128:131]
	ds_write_b128 v88, v[104:107] offset:32
	buffer_load_dword v88, off, s[36:39], 0 offset:392 ; 4-byte Folded Reload
	;; [unrolled: 4-line block ×8, first 2 shown]
	s_waitcnt vmcnt(0)
	ds_write_b128 v16, v[0:3]
	ds_write_b128 v16, v[12:15] offset:32
	s_waitcnt lgkmcnt(0)
	s_barrier
	buffer_gl0_inv
	ds_read_b128 v[96:99], v176
	ds_read_b128 v[92:95], v176 offset:1008
	ds_read_b128 v[128:131], v176 offset:6720
	;; [unrolled: 1-line block ×17, first 2 shown]
	s_and_saveexec_b32 s1, vcc_lo
	s_cbranch_execz .LBB0_15
; %bb.14:
	ds_read_b128 v[0:3], v176 offset:6048
	ds_read_b128 v[12:15], v176 offset:12768
	;; [unrolled: 1-line block ×3, first 2 shown]
.LBB0_15:
	s_or_b32 exec_lo, exec_lo, s1
	s_clause 0x3
	buffer_load_dword v146, off, s[36:39], 0 offset:652
	buffer_load_dword v147, off, s[36:39], 0 offset:656
	;; [unrolled: 1-line block ×4, first 2 shown]
	s_mov_b32 s4, 0xe8584caa
	s_mov_b32 s5, 0xbfebb67a
	;; [unrolled: 1-line block ×4, first 2 shown]
	s_waitcnt vmcnt(0) lgkmcnt(8)
	v_mul_f64 v[144:145], v[148:149], v[142:143]
	v_fma_f64 v[144:145], v[146:147], v[140:141], v[144:145]
	v_mul_f64 v[140:141], v[148:149], v[140:141]
	v_fma_f64 v[140:141], v[146:147], v[142:143], -v[140:141]
	s_clause 0x7
	buffer_load_dword v146, off, s[36:39], 0 offset:636
	buffer_load_dword v147, off, s[36:39], 0 offset:640
	;; [unrolled: 1-line block ×8, first 2 shown]
	s_waitcnt vmcnt(4) lgkmcnt(6)
	v_mul_f64 v[142:143], v[148:149], v[138:139]
	v_fma_f64 v[142:143], v[146:147], v[136:137], v[142:143]
	v_mul_f64 v[136:137], v[148:149], v[136:137]
	v_fma_f64 v[136:137], v[146:147], v[138:139], -v[136:137]
	s_clause 0x7
	buffer_load_dword v146, off, s[36:39], 0 offset:568
	buffer_load_dword v147, off, s[36:39], 0 offset:572
	buffer_load_dword v172, off, s[36:39], 0 offset:516
	buffer_load_dword v173, off, s[36:39], 0 offset:520
	buffer_load_dword v174, off, s[36:39], 0 offset:524
	buffer_load_dword v175, off, s[36:39], 0 offset:528
	buffer_load_dword v148, off, s[36:39], 0 offset:592
	buffer_load_dword v149, off, s[36:39], 0 offset:596
	v_mul_f64 v[138:139], v[102:103], v[130:131]
	s_clause 0x3
	buffer_load_dword v168, off, s[36:39], 0 offset:484
	buffer_load_dword v169, off, s[36:39], 0 offset:488
	;; [unrolled: 1-line block ×4, first 2 shown]
	v_fma_f64 v[138:139], v[100:101], v[128:129], v[138:139]
	v_mul_f64 v[128:129], v[102:103], v[128:129]
	v_fma_f64 v[128:129], v[100:101], v[130:131], -v[128:129]
	s_waitcnt lgkmcnt(3)
	v_mul_f64 v[130:131], v[102:103], v[134:135]
	v_mul_f64 v[102:103], v[102:103], v[132:133]
	v_fma_f64 v[130:131], v[100:101], v[132:133], v[130:131]
	v_fma_f64 v[132:133], v[100:101], v[134:135], -v[102:103]
	v_mul_f64 v[100:101], v[126:127], v[250:251]
	v_mul_f64 v[102:103], v[126:127], v[248:249]
	s_waitcnt lgkmcnt(1)
	v_mul_f64 v[134:135], v[126:127], v[254:255]
	v_mul_f64 v[126:127], v[126:127], v[252:253]
	v_fma_f64 v[100:101], v[124:125], v[248:249], v[100:101]
	v_fma_f64 v[102:103], v[124:125], v[250:251], -v[102:103]
	v_fma_f64 v[134:135], v[124:125], v[252:253], v[134:135]
	v_fma_f64 v[126:127], v[124:125], v[254:255], -v[126:127]
	s_waitcnt vmcnt(12)
	v_mul_f64 v[124:125], v[166:167], v[118:119]
	s_waitcnt vmcnt(10)
	v_fma_f64 v[124:125], v[146:147], v[116:117], v[124:125]
	v_mul_f64 v[116:117], v[166:167], v[116:117]
	s_waitcnt vmcnt(0)
	v_mul_f64 v[150:151], v[170:171], v[108:109]
	v_fma_f64 v[116:117], v[146:147], v[118:119], -v[116:117]
	v_mul_f64 v[118:119], v[174:175], v[246:247]
	v_mul_f64 v[146:147], v[174:175], v[244:245]
	v_add_f64 v[174:175], v[16:17], v[144:145]
	v_fma_f64 v[118:119], v[148:149], v[244:245], v[118:119]
	v_fma_f64 v[146:147], v[148:149], v[246:247], -v[146:147]
	s_clause 0x7
	buffer_load_dword v244, off, s[36:39], 0 offset:532
	buffer_load_dword v245, off, s[36:39], 0 offset:536
	;; [unrolled: 1-line block ×8, first 2 shown]
	v_mul_f64 v[148:149], v[170:171], v[110:111]
	s_clause 0x5
	buffer_load_dword v158, off, s[36:39], 0 offset:628
	buffer_load_dword v159, off, s[36:39], 0 offset:632
	;; [unrolled: 1-line block ×6, first 2 shown]
	s_waitcnt vmcnt(10)
	v_mul_f64 v[152:153], v[246:247], v[114:115]
	s_waitcnt vmcnt(6)
	v_fma_f64 v[110:111], v[156:157], v[110:111], -v[150:151]
	v_mul_f64 v[150:151], v[154:155], v[122:123]
	v_mul_f64 v[154:155], v[154:155], v[120:121]
	v_fma_f64 v[108:109], v[156:157], v[108:109], v[148:149]
	v_mul_f64 v[148:149], v[246:247], v[112:113]
	s_waitcnt vmcnt(4) lgkmcnt(0)
	v_mul_f64 v[156:157], v[158:159], v[106:107]
	s_waitcnt vmcnt(0)
	v_fma_f64 v[112:113], v[162:163], v[112:113], v[152:153]
	v_mul_f64 v[152:153], v[158:159], v[104:105]
	v_fma_f64 v[150:151], v[164:165], v[120:121], v[150:151]
	v_fma_f64 v[122:123], v[164:165], v[122:123], -v[154:155]
	s_clause 0x1
	buffer_load_dword v164, off, s[36:39], 0 offset:604
	buffer_load_dword v165, off, s[36:39], 0 offset:608
	v_fma_f64 v[114:115], v[162:163], v[114:115], -v[148:149]
	v_mul_f64 v[148:149], v[160:161], v[14:15]
	v_add_f64 v[158:159], v[138:139], v[100:101]
	v_mul_f64 v[160:161], v[160:161], v[12:13]
	v_add_f64 v[162:163], v[128:129], v[102:103]
	v_add_f64 v[120:121], v[124:125], v[108:109]
	;; [unrolled: 1-line block ×3, first 2 shown]
	v_fma_f64 v[156:157], v[168:169], v[104:105], v[156:157]
	s_waitcnt vmcnt(0)
	s_barrier
	buffer_gl0_inv
	v_add_f64 v[104:105], v[118:119], v[112:113]
	v_fma_f64 v[152:153], v[168:169], v[106:107], -v[152:153]
	v_add_f64 v[106:107], v[96:97], v[138:139]
	v_add_f64 v[168:169], v[128:129], -v[102:103]
	v_add_f64 v[128:129], v[98:99], v[128:129]
	v_add_f64 v[170:171], v[146:147], v[114:115]
	v_fma_f64 v[12:13], v[172:173], v[12:13], v[148:149]
	v_fma_f64 v[96:97], v[158:159], -0.5, v[96:97]
	v_add_f64 v[148:149], v[92:93], v[124:125]
	v_add_f64 v[138:139], v[138:139], -v[100:101]
	v_fma_f64 v[98:99], v[162:163], -0.5, v[98:99]
	v_fma_f64 v[14:15], v[172:173], v[14:15], -v[160:161]
	v_add_f64 v[158:159], v[116:117], -v[110:111]
	v_fma_f64 v[120:121], v[120:121], -0.5, v[92:93]
	v_add_f64 v[116:117], v[94:95], v[116:117]
	v_fma_f64 v[160:161], v[166:167], -0.5, v[94:95]
	v_add_f64 v[166:167], v[146:147], -v[114:115]
	v_add_f64 v[124:125], v[124:125], -v[108:109]
	v_add_f64 v[146:147], v[90:91], v[146:147]
	v_fma_f64 v[172:173], v[104:105], -0.5, v[88:89]
	v_add_f64 v[178:179], v[122:123], -v[152:153]
	v_fma_f64 v[170:171], v[170:171], -0.5, v[90:91]
	v_fma_f64 v[92:93], v[168:169], s[6:7], v[96:97]
	v_fma_f64 v[90:91], v[138:139], s[6:7], v[98:99]
	v_fma_f64 v[94:95], v[138:139], s[4:5], v[98:99]
	v_add_f64 v[138:139], v[140:141], v[136:137]
	v_fma_f64 v[104:105], v[158:159], s[6:7], v[120:121]
	v_add_f64 v[98:99], v[116:117], v[110:111]
	v_add_f64 v[110:111], v[146:147], v[114:115]
	v_fma_f64 v[116:117], v[166:167], s[6:7], v[172:173]
	v_fma_f64 v[138:139], v[138:139], -0.5, v[18:19]
	v_mul_f64 v[154:155], v[164:165], v[78:79]
	v_mul_f64 v[164:165], v[164:165], v[76:77]
	v_fma_f64 v[154:155], v[244:245], v[76:77], v[154:155]
	v_fma_f64 v[162:163], v[244:245], v[78:79], -v[164:165]
	v_add_f64 v[164:165], v[88:89], v[118:119]
	v_add_f64 v[78:79], v[128:129], v[102:103]
	v_fma_f64 v[88:89], v[168:169], s[4:5], v[96:97]
	v_add_f64 v[128:129], v[144:145], v[142:143]
	v_add_f64 v[96:97], v[148:149], v[108:109]
	;; [unrolled: 1-line block ×3, first 2 shown]
	v_add_f64 v[118:119], v[118:119], -v[112:113]
	v_add_f64 v[168:169], v[132:133], -v[126:127]
	v_add_f64 v[76:77], v[106:107], v[100:101]
	v_fma_f64 v[100:101], v[158:159], s[4:5], v[120:121]
	v_add_f64 v[158:159], v[132:133], v[126:127]
	v_add_f64 v[120:121], v[174:175], v[142:143]
	v_add_f64 v[142:143], v[144:145], -v[142:143]
	v_add_f64 v[144:145], v[84:85], v[130:131]
	v_fma_f64 v[102:103], v[124:125], s[6:7], v[160:161]
	v_fma_f64 v[106:107], v[124:125], s[4:5], v[160:161]
	v_add_f64 v[160:161], v[122:123], v[152:153]
	v_add_f64 v[244:245], v[82:83], v[122:123]
	;; [unrolled: 1-line block ×5, first 2 shown]
	v_add_f64 v[150:151], v[150:151], -v[156:157]
	v_add_f64 v[108:109], v[164:165], v[112:113]
	v_fma_f64 v[112:113], v[166:167], s[4:5], v[172:173]
	v_add_f64 v[166:167], v[140:141], -v[136:137]
	v_fma_f64 v[128:129], v[128:129], -0.5, v[16:17]
	v_add_f64 v[140:141], v[18:19], v[140:141]
	v_fma_f64 v[148:149], v[148:149], -0.5, v[84:85]
	v_fma_f64 v[114:115], v[118:119], s[6:7], v[170:171]
	v_fma_f64 v[118:119], v[118:119], s[4:5], v[170:171]
	v_add_f64 v[170:171], v[86:87], v[132:133]
	v_add_f64 v[172:173], v[130:131], -v[134:135]
	v_fma_f64 v[158:159], v[158:159], -0.5, v[86:87]
	v_add_f64 v[164:165], v[14:15], v[162:163]
	v_fma_f64 v[18:19], v[142:143], s[6:7], v[138:139]
	v_fma_f64 v[86:87], v[142:143], s[4:5], v[138:139]
	v_add_f64 v[248:249], v[14:15], -v[162:163]
	v_add_f64 v[14:15], v[2:3], v[14:15]
	v_fma_f64 v[82:83], v[160:161], -0.5, v[82:83]
	v_add_f64 v[160:161], v[0:1], v[12:13]
	v_fma_f64 v[80:81], v[124:125], -0.5, v[80:81]
	;; [unrolled: 2-line block ×3, first 2 shown]
	v_add_f64 v[250:251], v[12:13], -v[154:155]
	v_add_f64 v[138:139], v[244:245], v[152:153]
	v_fma_f64 v[16:17], v[166:167], s[4:5], v[128:129]
	v_fma_f64 v[84:85], v[166:167], s[6:7], v[128:129]
	;; [unrolled: 1-line block ×4, first 2 shown]
	buffer_load_dword v148, off, s[36:39], 0 offset:584 ; 4-byte Folded Reload
	v_add_f64 v[122:123], v[140:141], v[136:137]
	v_add_f64 v[126:127], v[170:171], v[126:127]
	v_fma_f64 v[130:131], v[172:173], s[6:7], v[158:159]
	v_fma_f64 v[134:135], v[172:173], s[4:5], v[158:159]
	v_fma_f64 v[164:165], v[164:165], -0.5, v[2:3]
	v_add_f64 v[136:137], v[174:175], v[156:157]
	s_waitcnt vmcnt(0)
	ds_write_b128 v148, v[76:79]
	ds_write_b128 v148, v[88:91] offset:64
	ds_write_b128 v148, v[92:95] offset:128
	buffer_load_dword v76, off, s[36:39], 0 offset:580 ; 4-byte Folded Reload
	v_fma_f64 v[140:141], v[178:179], s[4:5], v[80:81]
	v_fma_f64 v[144:145], v[178:179], s[6:7], v[80:81]
	;; [unrolled: 1-line block ×4, first 2 shown]
	v_add_f64 v[0:1], v[160:161], v[154:155]
	v_fma_f64 v[12:13], v[248:249], s[4:5], v[246:247]
	v_fma_f64 v[80:81], v[248:249], s[6:7], v[246:247]
	v_add_f64 v[2:3], v[14:15], v[162:163]
	v_fma_f64 v[14:15], v[250:251], s[6:7], v[164:165]
	v_fma_f64 v[82:83], v[250:251], s[4:5], v[164:165]
	s_waitcnt vmcnt(0)
	ds_write_b128 v76, v[96:99]
	ds_write_b128 v76, v[100:103] offset:64
	ds_write_b128 v76, v[104:107] offset:128
	buffer_load_dword v76, off, s[36:39], 0 offset:600 ; 4-byte Folded Reload
	s_waitcnt vmcnt(0)
	ds_write_b128 v76, v[108:111]
	ds_write_b128 v76, v[112:115] offset:64
	ds_write_b128 v76, v[116:119] offset:128
	buffer_load_dword v76, off, s[36:39], 0 offset:588 ; 4-byte Folded Reload
	;; [unrolled: 5-line block ×4, first 2 shown]
	s_waitcnt vmcnt(0)
	ds_write_b128 v16, v[136:139]
	ds_write_b128 v16, v[140:143] offset:64
	ds_write_b128 v16, v[144:147] offset:128
	s_and_saveexec_b32 s1, vcc_lo
	s_cbranch_execz .LBB0_17
; %bb.16:
	s_clause 0x1
	buffer_load_dword v16, off, s[36:39], 0 offset:892
	buffer_load_dword v17, off, s[36:39], 0 offset:888
	s_waitcnt vmcnt(1)
	v_mul_u32_u24_e32 v16, 12, v16
	s_waitcnt vmcnt(0)
	v_or_b32_e32 v16, v16, v17
	v_lshlrev_b32_e32 v16, 4, v16
	ds_write_b128 v16, v[0:3]
	ds_write_b128 v16, v[12:15] offset:64
	ds_write_b128 v16, v[80:83] offset:128
.LBB0_17:
	s_or_b32 exec_lo, exec_lo, s1
	s_waitcnt lgkmcnt(0)
	s_barrier
	buffer_gl0_inv
	ds_read_b128 v[96:99], v176
	ds_read_b128 v[92:95], v176 offset:1008
	ds_read_b128 v[244:247], v176 offset:6720
	;; [unrolled: 1-line block ×17, first 2 shown]
	s_and_saveexec_b32 s1, vcc_lo
	s_cbranch_execz .LBB0_19
; %bb.18:
	ds_read_b128 v[0:3], v176 offset:6048
	ds_read_b128 v[12:15], v176 offset:12768
	;; [unrolled: 1-line block ×3, first 2 shown]
.LBB0_19:
	s_or_b32 exec_lo, exec_lo, s1
	s_clause 0x3
	buffer_load_dword v172, off, s[36:39], 0 offset:824
	buffer_load_dword v173, off, s[36:39], 0 offset:828
	buffer_load_dword v174, off, s[36:39], 0 offset:832
	buffer_load_dword v175, off, s[36:39], 0 offset:836
	s_waitcnt lgkmcnt(13)
	v_mul_f64 v[148:149], v[238:239], v[142:143]
	v_mul_f64 v[144:145], v[242:243], v[246:247]
	;; [unrolled: 1-line block ×3, first 2 shown]
	s_waitcnt lgkmcnt(2)
	v_mul_f64 v[156:157], v[198:199], v[106:107]
	s_mov_b32 s6, 0xe8584caa
	s_mov_b32 s7, 0xbfebb67a
	;; [unrolled: 1-line block ×4, first 2 shown]
	s_waitcnt vmcnt(0) lgkmcnt(0)
	s_barrier
	buffer_gl0_inv
	v_fma_f64 v[148:149], v[236:237], v[140:141], v[148:149]
	v_mul_f64 v[140:141], v[238:239], v[140:141]
	v_fma_f64 v[144:145], v[240:241], v[244:245], v[144:145]
	v_fma_f64 v[146:147], v[240:241], v[246:247], -v[146:147]
	v_fma_f64 v[156:157], v[196:197], v[104:105], v[156:157]
	v_fma_f64 v[140:141], v[236:237], v[142:143], -v[140:141]
	v_mul_f64 v[142:143], v[230:231], v[138:139]
	v_add_f64 v[168:169], v[96:97], v[144:145]
	v_fma_f64 v[142:143], v[228:229], v[136:137], v[142:143]
	v_mul_f64 v[136:137], v[230:231], v[136:137]
	v_fma_f64 v[136:137], v[228:229], v[138:139], -v[136:137]
	v_mul_f64 v[138:139], v[234:235], v[134:135]
	v_fma_f64 v[138:139], v[232:233], v[132:133], v[138:139]
	v_mul_f64 v[132:133], v[234:235], v[132:133]
	v_fma_f64 v[132:133], v[232:233], v[134:135], -v[132:133]
	v_mul_f64 v[134:135], v[210:211], v[130:131]
	;; [unrolled: 4-line block ×4, first 2 shown]
	v_add_f64 v[178:179], v[128:129], -v[124:125]
	v_fma_f64 v[126:127], v[220:221], v[120:121], v[126:127]
	v_mul_f64 v[120:121], v[222:223], v[120:121]
	v_fma_f64 v[150:151], v[220:221], v[122:123], -v[120:121]
	v_mul_f64 v[120:121], v[218:219], v[118:119]
	v_mul_f64 v[122:123], v[218:219], v[116:117]
	v_fma_f64 v[152:153], v[216:217], v[116:117], v[120:121]
	v_fma_f64 v[154:155], v[216:217], v[118:119], -v[122:123]
	v_mul_f64 v[116:117], v[214:215], v[114:115]
	v_mul_f64 v[118:119], v[214:215], v[112:113]
	;; [unrolled: 1-line block ×4, first 2 shown]
	v_fma_f64 v[158:159], v[212:213], v[112:113], v[116:117]
	v_fma_f64 v[160:161], v[212:213], v[114:115], -v[118:119]
	v_mul_f64 v[112:113], v[198:199], v[104:105]
	v_mul_f64 v[118:119], v[174:175], v[102:103]
	v_fma_f64 v[162:163], v[192:193], v[108:109], v[120:121]
	v_mul_f64 v[108:109], v[174:175], v[100:101]
	v_add_f64 v[114:115], v[144:145], v[148:149]
	v_add_f64 v[116:117], v[146:147], v[140:141]
	v_fma_f64 v[164:165], v[192:193], v[110:111], -v[122:123]
	v_mul_f64 v[120:121], v[190:191], v[12:13]
	v_add_f64 v[122:123], v[142:143], v[138:139]
	v_mul_f64 v[104:105], v[186:187], v[82:83]
	v_mul_f64 v[110:111], v[190:191], v[14:15]
	v_fma_f64 v[166:167], v[196:197], v[106:107], -v[112:113]
	v_add_f64 v[106:107], v[136:137], v[132:133]
	v_fma_f64 v[170:171], v[172:173], v[100:101], v[118:119]
	v_fma_f64 v[172:173], v[172:173], v[102:103], -v[108:109]
	v_add_f64 v[108:109], v[92:93], v[142:143]
	v_fma_f64 v[114:115], v[114:115], -0.5, v[96:97]
	v_fma_f64 v[116:117], v[116:117], -0.5, v[98:99]
	v_add_f64 v[96:97], v[98:99], v[146:147]
	v_mul_f64 v[98:99], v[186:187], v[80:81]
	v_add_f64 v[146:147], v[146:147], -v[140:141]
	v_add_f64 v[118:119], v[144:145], -v[148:149]
	v_add_f64 v[144:145], v[136:137], -v[132:133]
	v_add_f64 v[136:137], v[94:95], v[136:137]
	v_add_f64 v[142:143], v[142:143], -v[138:139]
	v_fma_f64 v[122:123], v[122:123], -0.5, v[92:93]
	v_fma_f64 v[92:93], v[188:189], v[14:15], -v[120:121]
	v_fma_f64 v[14:15], v[184:185], v[80:81], v[104:105]
	v_fma_f64 v[12:13], v[188:189], v[12:13], v[110:111]
	v_add_f64 v[112:113], v[134:135], v[130:131]
	v_add_f64 v[120:121], v[88:89], v[134:135]
	v_fma_f64 v[174:175], v[106:107], -0.5, v[94:95]
	v_add_f64 v[94:95], v[168:169], v[148:149]
	v_add_f64 v[148:149], v[76:77], v[158:159]
	v_add_f64 v[106:107], v[108:109], v[138:139]
	v_add_f64 v[138:139], v[150:151], v[154:155]
	v_add_f64 v[96:97], v[96:97], v[140:141]
	v_fma_f64 v[80:81], v[184:185], v[82:83], -v[98:99]
	v_fma_f64 v[98:99], v[146:147], s[6:7], v[114:115]
	v_fma_f64 v[102:103], v[146:147], s[4:5], v[114:115]
	v_add_f64 v[146:147], v[86:87], v[150:151]
	v_add_f64 v[108:109], v[136:137], v[132:133]
	;; [unrolled: 1-line block ×4, first 2 shown]
	v_fma_f64 v[110:111], v[144:145], s[6:7], v[122:123]
	v_fma_f64 v[114:115], v[144:145], s[4:5], v[122:123]
	v_add_f64 v[144:145], v[150:151], -v[154:155]
	v_add_f64 v[150:151], v[78:79], v[160:161]
	v_fma_f64 v[100:101], v[118:119], s[4:5], v[116:117]
	v_fma_f64 v[104:105], v[118:119], s[6:7], v[116:117]
	v_fma_f64 v[186:187], v[112:113], -0.5, v[88:89]
	v_add_f64 v[82:83], v[90:91], v[128:129]
	v_fma_f64 v[112:113], v[142:143], s[4:5], v[174:175]
	v_fma_f64 v[116:117], v[142:143], s[6:7], v[174:175]
	v_add_f64 v[128:129], v[128:129], v[124:125]
	v_add_f64 v[118:119], v[120:121], v[130:131]
	v_fma_f64 v[86:87], v[138:139], -0.5, v[86:87]
	v_add_f64 v[138:139], v[126:127], -v[152:153]
	v_add_f64 v[142:143], v[166:167], v[172:173]
	v_add_f64 v[174:175], v[166:167], -v[172:173]
	v_add_f64 v[166:167], v[18:19], v[166:167]
	v_add_f64 v[184:185], v[126:127], v[152:153]
	;; [unrolled: 1-line block ×3, first 2 shown]
	v_add_f64 v[158:159], v[158:159], -v[162:163]
	v_fma_f64 v[78:79], v[132:133], -0.5, v[78:79]
	v_fma_f64 v[168:169], v[136:137], -0.5, v[16:17]
	v_fma_f64 v[88:89], v[178:179], s[6:7], v[186:187]
	v_add_f64 v[120:121], v[82:83], v[124:125]
	v_fma_f64 v[122:123], v[178:179], s[4:5], v[186:187]
	v_add_f64 v[82:83], v[12:13], v[14:15]
	v_fma_f64 v[124:125], v[128:129], -0.5, v[90:91]
	v_add_f64 v[90:91], v[92:93], v[80:81]
	v_add_f64 v[128:129], v[134:135], -v[130:131]
	v_fma_f64 v[132:133], v[138:139], s[4:5], v[86:87]
	v_fma_f64 v[136:137], v[138:139], s[6:7], v[86:87]
	buffer_load_dword v86, off, s[36:39], 0 offset:720 ; 4-byte Folded Reload
	v_fma_f64 v[178:179], v[142:143], -0.5, v[18:19]
	v_add_f64 v[130:131], v[84:85], v[126:127]
	v_fma_f64 v[134:135], v[184:185], -0.5, v[84:85]
	v_fma_f64 v[76:77], v[140:141], -0.5, v[76:77]
	v_add_f64 v[140:141], v[160:161], -v[164:165]
	v_add_f64 v[138:139], v[148:149], v[162:163]
	v_fma_f64 v[148:149], v[158:159], s[6:7], v[78:79]
	v_add_f64 v[160:161], v[16:17], v[156:157]
	v_add_f64 v[84:85], v[12:13], -v[14:15]
	v_add_f64 v[184:185], v[156:157], -v[170:171]
	s_waitcnt vmcnt(0)
	ds_write_b128 v86, v[94:97]
	ds_write_b128 v86, v[98:101] offset:192
	ds_write_b128 v86, v[102:105] offset:384
	buffer_load_dword v86, off, s[36:39], 0 offset:788 ; 4-byte Folded Reload
	v_fma_f64 v[18:19], v[90:91], -0.5, v[2:3]
	v_fma_f64 v[90:91], v[128:129], s[4:5], v[124:125]
	v_fma_f64 v[124:125], v[128:129], s[6:7], v[124:125]
	v_add_f64 v[126:127], v[130:131], v[152:153]
	v_add_f64 v[128:129], v[146:147], v[154:155]
	v_fma_f64 v[130:131], v[144:145], s[6:7], v[134:135]
	v_fma_f64 v[134:135], v[144:145], s[4:5], v[134:135]
	;; [unrolled: 1-line block ×4, first 2 shown]
	v_add_f64 v[140:141], v[150:151], v[164:165]
	v_fma_f64 v[144:145], v[158:159], s[4:5], v[78:79]
	v_fma_f64 v[16:17], v[82:83], -0.5, v[0:1]
	v_add_f64 v[82:83], v[92:93], -v[80:81]
	v_add_f64 v[150:151], v[160:161], v[170:171]
	v_add_f64 v[152:153], v[166:167], v[172:173]
	v_fma_f64 v[154:155], v[174:175], s[6:7], v[168:169]
	v_fma_f64 v[156:157], v[184:185], s[4:5], v[178:179]
	;; [unrolled: 1-line block ×4, first 2 shown]
	s_waitcnt vmcnt(0)
	ds_write_b128 v86, v[106:109]
	ds_write_b128 v86, v[110:113] offset:192
	ds_write_b128 v86, v[114:117] offset:384
	buffer_load_dword v86, off, s[36:39], 0 offset:748 ; 4-byte Folded Reload
	v_fma_f64 v[76:77], v[82:83], s[4:5], v[16:17]
	v_fma_f64 v[78:79], v[84:85], s[6:7], v[18:19]
	s_waitcnt vmcnt(0)
	ds_write_b128 v86, v[118:121]
	ds_write_b128 v86, v[88:91] offset:192
	ds_write_b128 v86, v[122:125] offset:384
	buffer_load_dword v86, off, s[36:39], 0 offset:744 ; 4-byte Folded Reload
	s_waitcnt vmcnt(0)
	ds_write_b128 v86, v[126:129]
	ds_write_b128 v86, v[130:133] offset:192
	ds_write_b128 v86, v[134:137] offset:384
	buffer_load_dword v86, off, s[36:39], 0 offset:768 ; 4-byte Folded Reload
	;; [unrolled: 5-line block ×3, first 2 shown]
	s_waitcnt vmcnt(0)
	ds_write_b128 v86, v[150:153]
	ds_write_b128 v86, v[154:157] offset:192
	ds_write_b128 v86, v[158:161] offset:384
	s_and_saveexec_b32 s1, vcc_lo
	s_cbranch_execz .LBB0_21
; %bb.20:
	v_add_f64 v[86:87], v[2:3], v[92:93]
	v_add_f64 v[0:1], v[0:1], v[12:13]
	v_mul_f64 v[12:13], v[82:83], s[4:5]
	v_mul_f64 v[84:85], v[84:85], s[4:5]
	v_add_f64 v[82:83], v[86:87], v[80:81]
	v_add_f64 v[80:81], v[0:1], v[14:15]
	v_add_f64 v[0:1], v[16:17], -v[12:13]
	buffer_load_dword v13, off, s[36:39], 0 offset:716 ; 4-byte Folded Reload
	v_add_f64 v[2:3], v[84:85], v[18:19]
	v_mov_b32_e32 v12, 4
	s_waitcnt vmcnt(0)
	v_lshlrev_b32_sdwa v12, v12, v13 dst_sel:DWORD dst_unused:UNUSED_PAD src0_sel:DWORD src1_sel:WORD_0
	ds_write_b128 v12, v[80:83]
	ds_write_b128 v12, v[0:3] offset:192
	ds_write_b128 v12, v[76:79] offset:384
.LBB0_21:
	s_or_b32 exec_lo, exec_lo, s1
	s_waitcnt lgkmcnt(0)
	s_barrier
	buffer_gl0_inv
	ds_read_b128 v[0:3], v176 offset:4032
	ds_read_b128 v[12:15], v176 offset:16128
	;; [unrolled: 1-line block ×7, first 2 shown]
	s_clause 0x3
	buffer_load_dword v130, off, s[36:39], 0 offset:860
	buffer_load_dword v131, off, s[36:39], 0 offset:864
	;; [unrolled: 1-line block ×4, first 2 shown]
	ds_read_b128 v[96:99], v176 offset:13104
	s_clause 0x7
	buffer_load_dword v138, off, s[36:39], 0 offset:808
	buffer_load_dword v139, off, s[36:39], 0 offset:812
	;; [unrolled: 1-line block ×8, first 2 shown]
	s_mov_b32 s4, 0x134454ff
	s_mov_b32 s5, 0xbfee6f0e
	;; [unrolled: 1-line block ×9, first 2 shown]
	s_waitcnt lgkmcnt(7)
	v_mul_f64 v[100:101], v[202:203], v[2:3]
	v_mul_f64 v[102:103], v[202:203], v[0:1]
	s_waitcnt lgkmcnt(6)
	v_mul_f64 v[104:105], v[206:207], v[14:15]
	v_mul_f64 v[106:107], v[206:207], v[12:13]
	s_mov_b32 s17, 0x3fd3c6ef
	v_fma_f64 v[120:121], v[200:201], v[0:1], v[100:101]
	v_fma_f64 v[122:123], v[200:201], v[2:3], -v[102:103]
	ds_read_b128 v[0:3], v176 offset:6048
	ds_read_b128 v[100:103], v176 offset:10080
	v_fma_f64 v[124:125], v[204:205], v[12:13], v[104:105]
	v_fma_f64 v[126:127], v[204:205], v[14:15], -v[106:107]
	ds_read_b128 v[104:107], v176 offset:14112
	s_clause 0x3
	buffer_load_dword v148, off, s[36:39], 0 offset:792
	buffer_load_dword v149, off, s[36:39], 0 offset:796
	;; [unrolled: 1-line block ×4, first 2 shown]
	s_waitcnt vmcnt(12) lgkmcnt(8)
	v_mul_f64 v[108:109], v[132:133], v[18:19]
	v_mul_f64 v[110:111], v[132:133], v[16:17]
	s_waitcnt vmcnt(8) lgkmcnt(7)
	v_mul_f64 v[112:113], v[140:141], v[82:83]
	v_mul_f64 v[114:115], v[140:141], v[80:81]
	;; [unrolled: 3-line block ×3, first 2 shown]
	v_fma_f64 v[128:129], v[130:131], v[16:17], v[108:109]
	v_fma_f64 v[130:131], v[130:131], v[18:19], -v[110:111]
	ds_read_b128 v[16:19], v176 offset:18144
	v_fma_f64 v[136:137], v[138:139], v[80:81], v[112:113]
	v_fma_f64 v[138:139], v[138:139], v[82:83], -v[114:115]
	v_fma_f64 v[142:143], v[144:145], v[84:85], v[116:117]
	v_fma_f64 v[144:145], v[144:145], v[86:87], -v[118:119]
	s_waitcnt vmcnt(0) lgkmcnt(5)
	v_mul_f64 v[12:13], v[150:151], v[94:95]
	v_mul_f64 v[14:15], v[150:151], v[92:93]
	s_clause 0x3
	buffer_load_dword v150, off, s[36:39], 0 offset:772
	buffer_load_dword v151, off, s[36:39], 0 offset:776
	;; [unrolled: 1-line block ×4, first 2 shown]
	ds_read_b128 v[108:111], v176 offset:7056
	s_clause 0x7
	buffer_load_dword v158, off, s[36:39], 0 offset:752
	buffer_load_dword v159, off, s[36:39], 0 offset:756
	;; [unrolled: 1-line block ×8, first 2 shown]
	ds_read_b128 v[112:115], v176 offset:11088
	v_fma_f64 v[146:147], v[148:149], v[92:93], v[12:13]
	v_fma_f64 v[148:149], v[148:149], v[94:95], -v[14:15]
	ds_read_b128 v[92:95], v176 offset:15120
	s_waitcnt vmcnt(8) lgkmcnt(7)
	v_mul_f64 v[132:133], v[152:153], v[98:99]
	v_mul_f64 v[134:135], v[152:153], v[96:97]
	s_waitcnt vmcnt(4)
	v_mul_f64 v[80:81], v[160:161], v[90:91]
	s_waitcnt vmcnt(0) lgkmcnt(6)
	v_mul_f64 v[140:141], v[164:165], v[2:3]
	v_mul_f64 v[84:85], v[164:165], v[0:1]
	s_clause 0x3
	buffer_load_dword v164, off, s[36:39], 0 offset:700
	buffer_load_dword v165, off, s[36:39], 0 offset:704
	;; [unrolled: 1-line block ×4, first 2 shown]
	v_mul_f64 v[82:83], v[160:161], v[88:89]
	v_fma_f64 v[132:133], v[150:151], v[96:97], v[132:133]
	v_fma_f64 v[134:135], v[150:151], v[98:99], -v[134:135]
	ds_read_b128 v[96:99], v176 offset:19152
	s_clause 0x3
	buffer_load_dword v170, off, s[36:39], 0 offset:684
	buffer_load_dword v171, off, s[36:39], 0 offset:688
	;; [unrolled: 1-line block ×4, first 2 shown]
	v_fma_f64 v[156:157], v[158:159], v[88:89], v[80:81]
	v_fma_f64 v[80:81], v[162:163], v[0:1], v[140:141]
	v_fma_f64 v[158:159], v[158:159], v[90:91], -v[82:83]
	v_fma_f64 v[14:15], v[162:163], v[2:3], -v[84:85]
	v_add_f64 v[140:141], v[128:129], v[136:137]
	s_waitcnt lgkmcnt(3)
	v_mul_f64 v[162:163], v[74:75], v[110:111]
	v_mul_f64 v[74:75], v[74:75], v[108:109]
	s_waitcnt vmcnt(4)
	v_mul_f64 v[12:13], v[166:167], v[102:103]
	v_mul_f64 v[86:87], v[166:167], v[100:101]
	s_clause 0x3
	buffer_load_dword v166, off, s[36:39], 0 offset:668
	buffer_load_dword v167, off, s[36:39], 0 offset:672
	;; [unrolled: 1-line block ×4, first 2 shown]
	ds_read_b128 v[88:91], v176
	ds_read_b128 v[116:119], v176 offset:1008
	s_waitcnt vmcnt(4)
	v_mul_f64 v[150:151], v[172:173], v[106:107]
	v_mul_f64 v[152:153], v[172:173], v[104:105]
	v_fma_f64 v[84:85], v[164:165], v[100:101], v[12:13]
	v_fma_f64 v[82:83], v[164:165], v[102:103], -v[86:87]
	s_waitcnt lgkmcnt(4)
	v_mul_f64 v[12:13], v[66:67], v[114:115]
	v_mul_f64 v[100:101], v[66:67], v[112:113]
	s_waitcnt lgkmcnt(3)
	v_mul_f64 v[102:103], v[70:71], v[94:95]
	v_mul_f64 v[164:165], v[70:71], v[92:93]
	s_waitcnt lgkmcnt(1)
	v_fma_f64 v[140:141], v[140:141], -0.5, v[88:89]
	v_fma_f64 v[66:67], v[72:73], v[110:111], -v[74:75]
	v_add_f64 v[110:111], v[120:121], -v[124:125]
	v_add_f64 v[172:173], v[158:159], -v[134:135]
	v_fma_f64 v[86:87], v[170:171], v[104:105], v[150:151]
	v_fma_f64 v[70:71], v[170:171], v[106:107], -v[152:153]
	v_add_f64 v[104:105], v[120:121], v[124:125]
	v_mul_f64 v[106:107], v[54:55], v[98:99]
	v_add_f64 v[150:151], v[88:89], v[120:121]
	v_add_f64 v[152:153], v[122:123], -v[126:127]
	v_fma_f64 v[74:75], v[64:65], v[114:115], -v[100:101]
	v_add_f64 v[114:115], v[136:137], -v[124:125]
	v_add_f64 v[170:171], v[144:145], -v[148:149]
	v_fma_f64 v[88:89], v[104:105], -0.5, v[88:89]
	v_add_f64 v[100:101], v[150:151], v[128:129]
	v_fma_f64 v[104:105], v[152:153], s[4:5], v[140:141]
	v_add_f64 v[150:151], v[122:123], -v[130:131]
	s_waitcnt vmcnt(0)
	v_mul_f64 v[154:155], v[168:169], v[18:19]
	v_mul_f64 v[160:161], v[168:169], v[16:17]
	v_fma_f64 v[2:3], v[166:167], v[16:17], v[154:155]
	v_add_f64 v[154:155], v[90:91], v[122:123]
	v_fma_f64 v[0:1], v[166:167], v[18:19], -v[160:161]
	v_mul_f64 v[160:161], v[54:55], v[96:97]
	v_add_f64 v[166:167], v[130:131], v[138:139]
	v_fma_f64 v[18:19], v[72:73], v[108:109], v[162:163]
	v_add_f64 v[108:109], v[122:123], v[126:127]
	v_fma_f64 v[16:17], v[64:65], v[112:113], v[12:13]
	v_fma_f64 v[64:65], v[68:69], v[92:93], v[102:103]
	v_fma_f64 v[54:55], v[68:69], v[94:95], -v[164:165]
	v_add_f64 v[68:69], v[130:131], -v[138:139]
	v_fma_f64 v[12:13], v[52:53], v[96:97], v[106:107]
	v_add_f64 v[92:93], v[120:121], -v[128:129]
	v_add_f64 v[94:95], v[124:125], -v[136:137]
	v_add_f64 v[96:97], v[146:147], v[132:133]
	v_fma_f64 v[106:107], v[152:153], s[14:15], v[140:141]
	v_add_f64 v[140:141], v[148:149], v[134:135]
	v_add_f64 v[162:163], v[144:145], v[158:159]
	;; [unrolled: 1-line block ×3, first 2 shown]
	v_add_f64 v[154:155], v[126:127], -v[138:139]
	v_fma_f64 v[72:73], v[52:53], v[98:99], -v[160:161]
	v_add_f64 v[52:53], v[142:143], v[156:157]
	v_add_f64 v[98:99], v[128:129], -v[120:121]
	v_fma_f64 v[112:113], v[166:167], -0.5, v[90:91]
	v_add_f64 v[120:121], v[128:129], -v[136:137]
	v_fma_f64 v[90:91], v[108:109], -0.5, v[90:91]
	s_waitcnt lgkmcnt(0)
	v_add_f64 v[108:109], v[116:117], v[142:143]
	v_fma_f64 v[160:161], v[68:69], s[14:15], v[88:89]
	v_add_f64 v[128:129], v[144:145], -v[158:159]
	v_fma_f64 v[88:89], v[68:69], s[4:5], v[88:89]
	v_add_f64 v[164:165], v[92:93], v[94:95]
	v_fma_f64 v[92:93], v[96:97], -0.5, v[116:117]
	v_add_f64 v[94:95], v[100:101], v[136:137]
	v_fma_f64 v[100:101], v[68:69], s[6:7], v[104:105]
	v_fma_f64 v[68:69], v[68:69], s[12:13], v[106:107]
	v_add_f64 v[104:105], v[130:131], -v[122:123]
	v_add_f64 v[106:107], v[138:139], -v[126:127]
	v_add_f64 v[122:123], v[118:119], v[144:145]
	v_add_f64 v[136:137], v[142:143], -v[156:157]
	v_add_f64 v[144:145], v[148:149], -v[144:145]
	v_add_f64 v[96:97], v[102:103], v[138:139]
	v_add_f64 v[102:103], v[148:149], -v[134:135]
	v_fma_f64 v[138:139], v[140:141], -0.5, v[118:119]
	v_fma_f64 v[52:53], v[52:53], -0.5, v[116:117]
	v_add_f64 v[114:115], v[98:99], v[114:115]
	v_fma_f64 v[116:117], v[110:111], s[14:15], v[112:113]
	v_fma_f64 v[112:113], v[110:111], s[4:5], v[112:113]
	;; [unrolled: 1-line block ×3, first 2 shown]
	v_add_f64 v[98:99], v[108:109], v[146:147]
	v_fma_f64 v[108:109], v[120:121], s[14:15], v[90:91]
	v_fma_f64 v[140:141], v[152:153], s[6:7], v[160:161]
	v_add_f64 v[160:161], v[142:143], -v[146:147]
	v_fma_f64 v[118:119], v[162:163], -0.5, v[118:119]
	v_add_f64 v[162:163], v[156:157], -v[132:133]
	v_fma_f64 v[152:153], v[152:153], s[12:13], v[88:89]
	v_fma_f64 v[166:167], v[128:129], s[4:5], v[92:93]
	v_add_f64 v[88:89], v[94:95], v[124:125]
	v_fma_f64 v[124:125], v[128:129], s[14:15], v[92:93]
	ds_read_b128 v[92:95], v176 offset:2016
	v_add_f64 v[122:123], v[122:123], v[148:149]
	v_add_f64 v[90:91], v[96:97], v[126:127]
	v_add_f64 v[96:97], v[146:147], -v[142:143]
	v_add_f64 v[142:143], v[132:133], -v[156:157]
	v_add_f64 v[126:127], v[150:151], v[154:155]
	v_fma_f64 v[150:151], v[102:103], s[14:15], v[52:53]
	v_fma_f64 v[116:117], v[120:121], s[12:13], v[116:117]
	;; [unrolled: 1-line block ×5, first 2 shown]
	v_add_f64 v[130:131], v[104:105], v[106:107]
	ds_read_b128 v[104:107], v176 offset:3024
	v_add_f64 v[154:155], v[84:85], v[86:87]
	v_fma_f64 v[168:169], v[110:111], s[6:7], v[108:109]
	v_fma_f64 v[110:111], v[136:137], s[14:15], v[138:139]
	v_add_f64 v[146:147], v[146:147], -v[132:133]
	v_fma_f64 v[138:139], v[136:137], s[4:5], v[138:139]
	v_add_f64 v[160:161], v[160:161], v[162:163]
	v_add_f64 v[162:163], v[80:81], v[2:3]
	;; [unrolled: 1-line block ×3, first 2 shown]
	v_fma_f64 v[166:167], v[102:103], s[6:7], v[166:167]
	v_fma_f64 v[124:125], v[102:103], s[12:13], v[124:125]
	v_add_f64 v[122:123], v[122:123], v[134:135]
	v_fma_f64 v[108:109], v[114:115], s[16:17], v[140:141]
	v_add_f64 v[134:135], v[134:135], -v[158:159]
	v_add_f64 v[142:143], v[96:97], v[142:143]
	v_fma_f64 v[96:97], v[164:165], s[16:17], v[100:101]
	v_fma_f64 v[100:101], v[164:165], s[16:17], v[68:69]
	s_waitcnt lgkmcnt(1)
	v_add_f64 v[68:69], v[92:93], v[80:81]
	v_fma_f64 v[98:99], v[126:127], s[16:17], v[116:117]
	v_fma_f64 v[102:103], v[126:127], s[16:17], v[112:113]
	;; [unrolled: 1-line block ×3, first 2 shown]
	v_add_f64 v[152:153], v[14:15], -v[0:1]
	v_add_f64 v[164:165], v[82:83], -v[70:71]
	v_fma_f64 v[140:141], v[154:155], -0.5, v[92:93]
	v_add_f64 v[154:155], v[170:171], v[172:173]
	v_fma_f64 v[114:115], v[130:131], s[16:17], v[168:169]
	v_fma_f64 v[126:127], v[146:147], s[12:13], v[110:111]
	;; [unrolled: 1-line block ×4, first 2 shown]
	v_fma_f64 v[92:93], v[162:163], -0.5, v[92:93]
	v_add_f64 v[162:163], v[82:83], v[70:71]
	v_add_f64 v[130:131], v[14:15], v[0:1]
	v_fma_f64 v[168:169], v[146:147], s[4:5], v[118:119]
	v_fma_f64 v[146:147], v[146:147], s[14:15], v[118:119]
	v_fma_f64 v[148:149], v[128:129], s[6:7], v[150:151]
	v_fma_f64 v[52:53], v[128:129], s[12:13], v[52:53]
	v_add_f64 v[128:129], v[94:95], v[14:15]
	v_add_f64 v[116:117], v[132:133], v[156:157]
	;; [unrolled: 1-line block ×4, first 2 shown]
	v_add_f64 v[132:133], v[80:81], -v[84:85]
	v_add_f64 v[150:151], v[2:3], -v[86:87]
	v_fma_f64 v[120:121], v[160:161], s[16:17], v[166:167]
	v_fma_f64 v[124:125], v[160:161], s[16:17], v[124:125]
	v_add_f64 v[158:159], v[18:19], v[12:13]
	v_fma_f64 v[156:157], v[152:153], s[4:5], v[140:141]
	v_add_f64 v[160:161], v[74:75], v[54:55]
	v_add_f64 v[134:135], v[144:145], v[134:135]
	v_fma_f64 v[122:123], v[154:155], s[16:17], v[126:127]
	s_waitcnt lgkmcnt(0)
	v_fma_f64 v[126:127], v[154:155], s[16:17], v[138:139]
	v_fma_f64 v[138:139], v[152:153], s[14:15], v[140:141]
	v_add_f64 v[140:141], v[16:17], v[64:65]
	v_fma_f64 v[154:155], v[162:163], -0.5, v[94:95]
	v_add_f64 v[162:163], v[66:67], v[72:73]
	v_fma_f64 v[94:95], v[130:131], -0.5, v[94:95]
	v_add_f64 v[130:131], v[80:81], -v[2:3]
	v_fma_f64 v[166:167], v[164:165], s[14:15], v[92:93]
	v_add_f64 v[80:81], v[84:85], -v[80:81]
	v_add_f64 v[84:85], v[84:85], -v[86:87]
	v_fma_f64 v[144:145], v[136:137], s[12:13], v[168:169]
	v_add_f64 v[168:169], v[86:87], -v[2:3]
	v_fma_f64 v[136:137], v[136:137], s[6:7], v[146:147]
	v_add_f64 v[68:69], v[68:69], v[86:87]
	v_fma_f64 v[86:87], v[164:165], s[4:5], v[92:93]
	v_add_f64 v[92:93], v[128:129], v[82:83]
	v_add_f64 v[128:129], v[14:15], -v[82:83]
	v_add_f64 v[146:147], v[0:1], -v[70:71]
	v_add_f64 v[132:133], v[132:133], v[150:151]
	v_fma_f64 v[150:151], v[164:165], s[6:7], v[156:157]
	v_add_f64 v[156:157], v[104:105], v[18:19]
	v_add_f64 v[14:15], v[82:83], -v[14:15]
	s_barrier
	v_fma_f64 v[138:139], v[164:165], s[12:13], v[138:139]
	v_fma_f64 v[140:141], v[140:141], -0.5, v[104:105]
	v_fma_f64 v[104:105], v[158:159], -0.5, v[104:105]
	;; [unrolled: 1-line block ×4, first 2 shown]
	v_fma_f64 v[82:83], v[130:131], s[14:15], v[154:155]
	v_fma_f64 v[154:155], v[130:131], s[4:5], v[154:155]
	v_add_f64 v[162:163], v[70:71], -v[0:1]
	v_add_f64 v[106:107], v[106:107], v[66:67]
	v_fma_f64 v[164:165], v[84:85], s[4:5], v[94:95]
	v_fma_f64 v[94:95], v[84:85], s[14:15], v[94:95]
	v_add_f64 v[168:169], v[80:81], v[168:169]
	v_add_f64 v[80:81], v[66:67], -v[72:73]
	v_fma_f64 v[166:167], v[152:153], s[6:7], v[166:167]
	v_fma_f64 v[152:153], v[152:153], s[12:13], v[86:87]
	v_add_f64 v[70:71], v[92:93], v[70:71]
	v_add_f64 v[146:147], v[128:129], v[146:147]
	v_add_f64 v[86:87], v[18:19], -v[16:17]
	v_add_f64 v[92:93], v[12:13], -v[64:65]
	;; [unrolled: 1-line block ×3, first 2 shown]
	buffer_gl0_inv
	v_fma_f64 v[170:171], v[84:85], s[12:13], v[82:83]
	v_fma_f64 v[154:155], v[84:85], s[6:7], v[154:155]
	v_add_f64 v[14:15], v[14:15], v[162:163]
	v_add_f64 v[82:83], v[106:107], v[74:75]
	v_fma_f64 v[162:163], v[130:131], s[12:13], v[164:165]
	v_fma_f64 v[164:165], v[130:131], s[6:7], v[94:95]
	v_add_f64 v[84:85], v[66:67], -v[74:75]
	v_fma_f64 v[94:95], v[80:81], s[4:5], v[140:141]
	v_fma_f64 v[106:107], v[80:81], s[14:15], v[140:141]
	v_add_f64 v[130:131], v[156:157], v[16:17]
	v_add_f64 v[66:67], v[74:75], -v[66:67]
	v_add_f64 v[74:75], v[18:19], -v[12:13]
	;; [unrolled: 1-line block ×4, first 2 shown]
	v_add_f64 v[156:157], v[86:87], v[92:93]
	v_fma_f64 v[86:87], v[128:129], s[14:15], v[104:105]
	v_fma_f64 v[92:93], v[128:129], s[4:5], v[104:105]
	v_add_f64 v[16:17], v[16:17], -v[64:65]
	v_add_f64 v[182:183], v[82:83], v[54:55]
	v_fma_f64 v[82:83], v[134:135], s[16:17], v[144:145]
	v_fma_f64 v[172:173], v[128:129], s[6:7], v[94:95]
	;; [unrolled: 1-line block ×3, first 2 shown]
	v_add_f64 v[94:95], v[72:73], -v[54:55]
	v_add_f64 v[128:129], v[54:55], -v[72:73]
	v_fma_f64 v[104:105], v[74:75], s[14:15], v[158:159]
	v_fma_f64 v[106:107], v[74:75], s[4:5], v[158:159]
	v_add_f64 v[18:19], v[18:19], v[140:141]
	v_add_f64 v[64:65], v[130:131], v[64:65]
	v_fma_f64 v[140:141], v[80:81], s[6:7], v[86:87]
	v_fma_f64 v[158:159], v[80:81], s[12:13], v[92:93]
	v_fma_f64 v[86:87], v[16:17], s[4:5], v[160:161]
	v_fma_f64 v[92:93], v[16:17], s[14:15], v[160:161]
	v_fma_f64 v[80:81], v[142:143], s[16:17], v[148:149]
	v_fma_f64 v[130:131], v[14:15], s[16:17], v[162:163]
	v_fma_f64 v[54:55], v[146:147], s[16:17], v[154:155]
	v_add_f64 v[160:161], v[84:85], v[94:95]
	v_fma_f64 v[84:85], v[142:143], s[16:17], v[52:53]
	v_add_f64 v[94:95], v[70:71], v[0:1]
	v_fma_f64 v[178:179], v[16:17], s[12:13], v[104:105]
	v_fma_f64 v[180:181], v[16:17], s[6:7], v[106:107]
	;; [unrolled: 1-line block ×4, first 2 shown]
	v_add_f64 v[66:67], v[66:67], v[128:129]
	v_fma_f64 v[142:143], v[74:75], s[12:13], v[86:87]
	v_fma_f64 v[74:75], v[74:75], s[6:7], v[92:93]
	v_add_f64 v[92:93], v[68:69], v[2:3]
	v_add_f64 v[2:3], v[182:183], v[72:73]
	buffer_load_dword v72, off, s[36:39], 0 offset:856 ; 4-byte Folded Reload
	v_fma_f64 v[86:87], v[134:135], s[16:17], v[136:137]
	v_fma_f64 v[128:129], v[168:169], s[16:17], v[166:167]
	;; [unrolled: 1-line block ×5, first 2 shown]
	v_add_f64 v[0:1], v[64:65], v[12:13]
	v_fma_f64 v[12:13], v[156:157], s[16:17], v[172:173]
	v_fma_f64 v[16:17], v[18:19], s[16:17], v[140:141]
	;; [unrolled: 1-line block ×4, first 2 shown]
	s_waitcnt vmcnt(0)
	ds_write_b128 v72, v[88:91]
	ds_write_b128 v72, v[96:99] offset:576
	ds_write_b128 v72, v[108:111] offset:1152
	;; [unrolled: 1-line block ×4, first 2 shown]
	buffer_load_dword v72, off, s[36:39], 0 offset:880 ; 4-byte Folded Reload
	v_fma_f64 v[14:15], v[160:161], s[16:17], v[178:179]
	v_fma_f64 v[18:19], v[66:67], s[16:17], v[142:143]
	;; [unrolled: 1-line block ×4, first 2 shown]
	s_waitcnt vmcnt(0)
	ds_write_b128 v72, v[116:119]
	ds_write_b128 v72, v[120:123] offset:576
	ds_write_b128 v72, v[80:83] offset:1152
	;; [unrolled: 1-line block ×4, first 2 shown]
	buffer_load_dword v72, off, s[36:39], 0 offset:876 ; 4-byte Folded Reload
	s_waitcnt vmcnt(0)
	ds_write_b128 v72, v[92:95]
	ds_write_b128 v72, v[104:107] offset:576
	ds_write_b128 v72, v[128:131] offset:1152
	;; [unrolled: 1-line block ×4, first 2 shown]
	buffer_load_dword v72, off, s[36:39], 0 offset:884 ; 4-byte Folded Reload
	s_waitcnt vmcnt(0)
	ds_write_b128 v72, v[0:3]
	ds_write_b128 v72, v[12:15] offset:576
	ds_write_b128 v72, v[16:19] offset:1152
	;; [unrolled: 1-line block ×4, first 2 shown]
	s_waitcnt lgkmcnt(0)
	s_barrier
	buffer_gl0_inv
	ds_read_b128 v[80:83], v176
	ds_read_b128 v[72:75], v176 offset:1008
	ds_read_b128 v[116:119], v176 offset:2880
	ds_read_b128 v[96:99], v176 offset:3888
	ds_read_b128 v[120:123], v176 offset:5760
	ds_read_b128 v[92:95], v176 offset:6768
	ds_read_b128 v[108:111], v176 offset:8640
	ds_read_b128 v[84:87], v176 offset:9648
	ds_read_b128 v[112:115], v176 offset:11520
	ds_read_b128 v[88:91], v176 offset:12528
	ds_read_b128 v[124:127], v176 offset:14400
	ds_read_b128 v[100:103], v176 offset:15408
	ds_read_b128 v[128:131], v176 offset:17280
	ds_read_b128 v[104:107], v176 offset:18288
	s_and_saveexec_b32 s1, s0
	s_cbranch_execz .LBB0_23
; %bb.22:
	ds_read_b128 v[52:55], v176 offset:2016
	ds_read_b128 v[0:3], v176 offset:4896
	;; [unrolled: 1-line block ×7, first 2 shown]
.LBB0_23:
	s_or_b32 exec_lo, exec_lo, s1
	s_waitcnt lgkmcnt(11)
	v_mul_f64 v[132:133], v[22:23], v[118:119]
	v_mul_f64 v[22:23], v[22:23], v[116:117]
	s_waitcnt lgkmcnt(9)
	v_mul_f64 v[134:135], v[26:27], v[122:123]
	v_mul_f64 v[26:27], v[26:27], v[120:121]
	;; [unrolled: 3-line block ×3, first 2 shown]
	v_mul_f64 v[138:139], v[42:43], v[126:127]
	v_mul_f64 v[42:43], v[42:43], v[124:125]
	;; [unrolled: 1-line block ×8, first 2 shown]
	s_mov_b32 s12, 0x37e14327
	s_mov_b32 s4, 0x36b3c0b5
	;; [unrolled: 1-line block ×8, first 2 shown]
	v_fma_f64 v[116:117], v[20:21], v[116:117], v[132:133]
	v_fma_f64 v[20:21], v[20:21], v[118:119], -v[22:23]
	v_fma_f64 v[22:23], v[24:25], v[120:121], v[134:135]
	v_fma_f64 v[24:25], v[24:25], v[122:123], -v[26:27]
	;; [unrolled: 2-line block ×4, first 2 shown]
	v_mul_f64 v[42:43], v[46:47], v[94:95]
	v_mul_f64 v[46:47], v[46:47], v[92:93]
	;; [unrolled: 1-line block ×4, first 2 shown]
	s_waitcnt lgkmcnt(0)
	v_mul_f64 v[124:125], v[62:63], v[106:107]
	v_mul_f64 v[62:63], v[62:63], v[104:105]
	v_fma_f64 v[108:109], v[8:9], v[108:109], v[140:141]
	v_fma_f64 v[8:9], v[8:9], v[110:111], -v[10:11]
	v_fma_f64 v[10:11], v[4:5], v[112:113], v[142:143]
	v_mul_f64 v[118:119], v[38:39], v[86:87]
	v_mul_f64 v[38:39], v[38:39], v[84:85]
	v_mul_f64 v[120:121], v[34:35], v[90:91]
	v_mul_f64 v[34:35], v[34:35], v[88:89]
	v_fma_f64 v[4:5], v[4:5], v[114:115], -v[6:7]
	v_fma_f64 v[96:97], v[28:29], v[96:97], v[144:145]
	v_fma_f64 v[28:29], v[28:29], v[98:99], -v[30:31]
	s_mov_b32 s21, 0xbfe77f67
	s_mov_b32 s20, s16
	v_add_f64 v[6:7], v[116:117], v[26:27]
	v_add_f64 v[110:111], v[20:21], v[48:49]
	v_add_f64 v[112:113], v[22:23], v[50:51]
	v_add_f64 v[114:115], v[24:25], v[40:41]
	v_fma_f64 v[42:43], v[44:45], v[92:93], v[42:43]
	v_fma_f64 v[44:45], v[44:45], v[94:95], -v[46:47]
	v_fma_f64 v[46:47], v[56:57], v[100:101], v[122:123]
	v_fma_f64 v[56:57], v[56:57], v[102:103], -v[58:59]
	;; [unrolled: 2-line block ×3, first 2 shown]
	v_add_f64 v[22:23], v[22:23], -v[50:51]
	v_add_f64 v[24:25], v[24:25], -v[40:41]
	v_add_f64 v[58:59], v[108:109], v[10:11]
	v_fma_f64 v[84:85], v[36:37], v[84:85], v[118:119]
	v_fma_f64 v[36:37], v[36:37], v[86:87], -v[38:39]
	v_fma_f64 v[38:39], v[32:33], v[88:89], v[120:121]
	v_fma_f64 v[32:33], v[32:33], v[90:91], -v[34:35]
	v_add_f64 v[62:63], v[8:9], v[4:5]
	v_add_f64 v[10:11], v[10:11], -v[108:109]
	v_add_f64 v[8:9], v[4:5], -v[8:9]
	;; [unrolled: 1-line block ×4, first 2 shown]
	s_mov_b32 s6, 0x429ad128
	s_mov_b32 s7, 0xbfebfeb5
	v_add_f64 v[92:93], v[112:113], v[6:7]
	v_add_f64 v[94:95], v[114:115], v[110:111]
	v_add_f64 v[90:91], v[112:113], -v[6:7]
	s_mov_b32 s22, 0xb247c609
	v_add_f64 v[48:49], v[42:43], v[46:47]
	v_add_f64 v[50:51], v[44:45], v[56:57]
	;; [unrolled: 1-line block ×4, first 2 shown]
	v_add_f64 v[28:29], v[28:29], -v[60:61]
	v_add_f64 v[42:43], v[42:43], -v[46:47]
	;; [unrolled: 1-line block ×5, first 2 shown]
	v_add_f64 v[56:57], v[84:85], v[38:39]
	v_add_f64 v[38:39], v[38:39], -v[84:85]
	v_add_f64 v[60:61], v[110:111], -v[62:63]
	v_add_f64 v[88:89], v[62:63], -v[114:115]
	v_add_f64 v[84:85], v[8:9], -v[24:25]
	v_add_f64 v[30:31], v[96:97], -v[30:31]
	v_add_f64 v[96:97], v[8:9], v[24:25]
	v_add_f64 v[24:25], v[24:25], -v[20:21]
	v_add_f64 v[108:109], v[26:27], -v[10:11]
	v_add_f64 v[46:47], v[58:59], v[92:93]
	v_add_f64 v[58:59], v[62:63], v[94:95]
	;; [unrolled: 1-line block ×3, first 2 shown]
	v_add_f64 v[32:33], v[32:33], -v[36:37]
	v_add_f64 v[36:37], v[10:11], -v[22:23]
	v_add_f64 v[94:95], v[10:11], v[22:23]
	v_add_f64 v[98:99], v[48:49], v[34:35]
	;; [unrolled: 1-line block ×3, first 2 shown]
	v_add_f64 v[22:23], v[22:23], -v[26:27]
	v_add_f64 v[92:93], v[114:115], -v[110:111]
	v_mul_f64 v[102:103], v[4:5], s[12:13]
	v_mul_f64 v[104:105], v[86:87], s[4:5]
	s_mov_b32 s23, 0xbfd5d0dc
	v_add_f64 v[112:113], v[56:57], -v[48:49]
	s_mov_b32 s14, 0xaaaaaaaa
	v_mul_f64 v[60:61], v[60:61], s[12:13]
	v_mul_f64 v[106:107], v[88:89], s[4:5]
	s_mov_b32 s15, 0xbff2aaaa
	s_mov_b32 s25, 0x3fd5d0dc
	;; [unrolled: 1-line block ×5, first 2 shown]
	v_add_f64 v[4:5], v[80:81], v[46:47]
	v_add_f64 v[6:7], v[82:83], v[58:59]
	v_add_f64 v[80:81], v[20:21], -v[8:9]
	v_add_f64 v[82:83], v[34:35], -v[56:57]
	;; [unrolled: 1-line block ×4, first 2 shown]
	v_mul_f64 v[8:9], v[36:37], s[18:19]
	v_mul_f64 v[36:37], v[84:85], s[18:19]
	v_add_f64 v[84:85], v[38:39], -v[42:43]
	v_add_f64 v[116:117], v[32:33], -v[44:45]
	v_add_f64 v[56:57], v[56:57], v[98:99]
	v_add_f64 v[62:63], v[62:63], v[100:101]
	v_fma_f64 v[86:87], v[86:87], s[4:5], v[102:103]
	v_fma_f64 v[98:99], v[90:91], s[16:17], -v[104:105]
	v_fma_f64 v[90:91], v[90:91], s[20:21], -v[102:103]
	v_add_f64 v[102:103], v[42:43], -v[30:31]
	v_add_f64 v[104:105], v[44:45], -v[28:29]
	v_add_f64 v[26:27], v[94:95], v[26:27]
	v_add_f64 v[20:21], v[96:97], v[20:21]
	v_mul_f64 v[94:95], v[22:23], s[6:7]
	v_mul_f64 v[96:97], v[24:25], s[6:7]
	v_fma_f64 v[88:89], v[88:89], s[4:5], v[60:61]
	v_fma_f64 v[100:101], v[92:93], s[16:17], -v[106:107]
	v_fma_f64 v[60:61], v[92:93], s[20:21], -v[60:61]
	v_add_f64 v[34:35], v[48:49], -v[34:35]
	v_add_f64 v[40:41], v[50:51], -v[40:41]
	v_add_f64 v[42:43], v[38:39], v[42:43]
	v_add_f64 v[44:45], v[32:33], v[44:45]
	v_fma_f64 v[92:93], v[108:109], s[22:23], v[8:9]
	v_fma_f64 v[22:23], v[22:23], s[6:7], -v[8:9]
	v_mul_f64 v[48:49], v[82:83], s[12:13]
	v_mul_f64 v[50:51], v[110:111], s[12:13]
	v_add_f64 v[8:9], v[72:73], v[56:57]
	v_add_f64 v[10:11], v[74:75], v[62:63]
	v_mul_f64 v[72:73], v[112:113], s[4:5]
	v_mul_f64 v[74:75], v[114:115], s[4:5]
	v_add_f64 v[38:39], v[30:31], -v[38:39]
	v_add_f64 v[32:33], v[28:29], -v[32:33]
	v_mul_f64 v[82:83], v[116:117], s[18:19]
	v_mul_f64 v[84:85], v[84:85], s[18:19]
	;; [unrolled: 1-line block ×4, first 2 shown]
	v_fma_f64 v[46:47], v[46:47], s[14:15], v[4:5]
	v_fma_f64 v[58:59], v[58:59], s[14:15], v[6:7]
	;; [unrolled: 1-line block ×3, first 2 shown]
	v_fma_f64 v[24:25], v[24:25], s[6:7], -v[36:37]
	v_fma_f64 v[36:37], v[108:109], s[24:25], -v[94:95]
	;; [unrolled: 1-line block ×3, first 2 shown]
	v_add_f64 v[30:31], v[42:43], v[30:31]
	v_add_f64 v[28:29], v[44:45], v[28:29]
	v_fma_f64 v[42:43], v[56:57], s[14:15], v[8:9]
	v_fma_f64 v[44:45], v[62:63], s[14:15], v[10:11]
	;; [unrolled: 1-line block ×4, first 2 shown]
	v_fma_f64 v[72:73], v[34:35], s[16:17], -v[72:73]
	v_fma_f64 v[74:75], v[40:41], s[16:17], -v[74:75]
	;; [unrolled: 1-line block ×4, first 2 shown]
	v_fma_f64 v[48:49], v[32:33], s[22:23], v[82:83]
	v_fma_f64 v[50:51], v[38:39], s[22:23], v[84:85]
	v_fma_f64 v[32:33], v[32:33], s[24:25], -v[110:111]
	v_fma_f64 v[38:39], v[38:39], s[24:25], -v[116:117]
	;; [unrolled: 1-line block ×4, first 2 shown]
	v_add_f64 v[86:87], v[86:87], v[46:47]
	v_add_f64 v[88:89], v[88:89], v[58:59]
	;; [unrolled: 1-line block ×6, first 2 shown]
	v_fma_f64 v[60:61], v[20:21], s[26:27], v[106:107]
	v_fma_f64 v[90:91], v[26:27], s[26:27], v[92:93]
	;; [unrolled: 1-line block ×6, first 2 shown]
	v_add_f64 v[100:101], v[56:57], v[42:43]
	v_add_f64 v[102:103], v[62:63], v[44:45]
	;; [unrolled: 1-line block ×4, first 2 shown]
	v_fma_f64 v[106:107], v[28:29], s[26:27], v[48:49]
	v_fma_f64 v[108:109], v[30:31], s[26:27], v[50:51]
	v_add_f64 v[74:75], v[34:35], v[42:43]
	v_add_f64 v[104:105], v[40:41], v[44:45]
	v_fma_f64 v[110:111], v[28:29], s[26:27], v[32:33]
	v_fma_f64 v[112:113], v[30:31], s[26:27], v[38:39]
	;; [unrolled: 1-line block ×4, first 2 shown]
	v_add_f64 v[20:21], v[60:61], v[86:87]
	v_add_f64 v[22:23], v[88:89], -v[90:91]
	v_add_f64 v[24:25], v[80:81], v[46:47]
	v_add_f64 v[26:27], v[58:59], -v[92:93]
	v_add_f64 v[28:29], v[94:95], -v[36:37]
	v_add_f64 v[30:31], v[98:99], v[96:97]
	v_add_f64 v[32:33], v[36:37], v[94:95]
	v_add_f64 v[34:35], v[96:97], -v[98:99]
	v_add_f64 v[36:37], v[46:47], -v[80:81]
	v_add_f64 v[38:39], v[92:93], v[58:59]
	v_add_f64 v[40:41], v[86:87], -v[60:61]
	v_add_f64 v[42:43], v[90:91], v[88:89]
	v_add_f64 v[44:45], v[106:107], v[100:101]
	v_add_f64 v[46:47], v[102:103], -v[108:109]
	v_add_f64 v[48:49], v[110:111], v[74:75]
	v_add_f64 v[50:51], v[104:105], -v[112:113]
	v_add_f64 v[56:57], v[62:63], -v[82:83]
	v_add_f64 v[58:59], v[84:85], v[72:73]
	v_add_f64 v[60:61], v[82:83], v[62:63]
	v_add_f64 v[62:63], v[72:73], -v[84:85]
	v_add_f64 v[72:73], v[74:75], -v[110:111]
	v_add_f64 v[74:75], v[112:113], v[104:105]
	v_add_f64 v[80:81], v[100:101], -v[106:107]
	v_add_f64 v[82:83], v[108:109], v[102:103]
	ds_write_b128 v176, v[4:7]
	ds_write_b128 v176, v[20:23] offset:2880
	ds_write_b128 v176, v[24:27] offset:5760
	ds_write_b128 v176, v[28:31] offset:8640
	ds_write_b128 v176, v[32:35] offset:11520
	ds_write_b128 v176, v[36:39] offset:14400
	ds_write_b128 v176, v[40:43] offset:17280
	ds_write_b128 v176, v[8:11] offset:1008
	ds_write_b128 v176, v[44:47] offset:3888
	ds_write_b128 v176, v[48:51] offset:6768
	ds_write_b128 v176, v[56:59] offset:9648
	ds_write_b128 v176, v[60:63] offset:12528
	ds_write_b128 v176, v[72:75] offset:15408
	ds_write_b128 v176, v[80:83] offset:18288
	s_and_saveexec_b32 s1, s0
	s_cbranch_execz .LBB0_25
; %bb.24:
	s_clause 0x17
	buffer_load_dword v60, off, s[36:39], 0 offset:976
	buffer_load_dword v61, off, s[36:39], 0 offset:980
	buffer_load_dword v62, off, s[36:39], 0 offset:984
	buffer_load_dword v63, off, s[36:39], 0 offset:988
	buffer_load_dword v44, off, s[36:39], 0 offset:928
	buffer_load_dword v45, off, s[36:39], 0 offset:932
	buffer_load_dword v46, off, s[36:39], 0 offset:936
	buffer_load_dword v47, off, s[36:39], 0 offset:940
	buffer_load_dword v56, off, s[36:39], 0 offset:960
	buffer_load_dword v57, off, s[36:39], 0 offset:964
	buffer_load_dword v58, off, s[36:39], 0 offset:968
	buffer_load_dword v59, off, s[36:39], 0 offset:972
	buffer_load_dword v48, off, s[36:39], 0 offset:944
	buffer_load_dword v49, off, s[36:39], 0 offset:948
	buffer_load_dword v50, off, s[36:39], 0 offset:952
	buffer_load_dword v51, off, s[36:39], 0 offset:956
	buffer_load_dword v36, off, s[36:39], 0 offset:896
	buffer_load_dword v37, off, s[36:39], 0 offset:900
	buffer_load_dword v38, off, s[36:39], 0 offset:904
	buffer_load_dword v39, off, s[36:39], 0 offset:908
	buffer_load_dword v40, off, s[36:39], 0 offset:912
	buffer_load_dword v41, off, s[36:39], 0 offset:916
	buffer_load_dword v42, off, s[36:39], 0 offset:920
	buffer_load_dword v43, off, s[36:39], 0 offset:924
	s_waitcnt vmcnt(20)
	v_mul_f64 v[4:5], v[62:63], v[76:77]
	s_waitcnt vmcnt(16)
	v_mul_f64 v[6:7], v[46:47], v[0:1]
	;; [unrolled: 2-line block ×4, first 2 shown]
	v_mul_f64 v[20:21], v[46:47], v[2:3]
	v_mul_f64 v[22:23], v[62:63], v[78:79]
	;; [unrolled: 1-line block ×4, first 2 shown]
	s_waitcnt vmcnt(4)
	v_mul_f64 v[28:29], v[38:39], v[66:67]
	s_waitcnt vmcnt(0)
	v_mul_f64 v[30:31], v[42:43], v[18:19]
	v_mul_f64 v[32:33], v[42:43], v[16:17]
	;; [unrolled: 1-line block ×3, first 2 shown]
	v_fma_f64 v[4:5], v[60:61], v[78:79], -v[4:5]
	v_fma_f64 v[2:3], v[44:45], v[2:3], -v[6:7]
	;; [unrolled: 1-line block ×4, first 2 shown]
	v_fma_f64 v[0:1], v[44:45], v[0:1], v[20:21]
	v_fma_f64 v[10:11], v[60:61], v[76:77], v[22:23]
	;; [unrolled: 1-line block ×6, first 2 shown]
	v_fma_f64 v[18:19], v[40:41], v[18:19], -v[32:33]
	v_fma_f64 v[22:23], v[36:37], v[66:67], -v[34:35]
	v_add_f64 v[24:25], v[2:3], v[4:5]
	v_add_f64 v[4:5], v[2:3], -v[4:5]
	v_add_f64 v[26:27], v[8:9], v[6:7]
	v_add_f64 v[6:7], v[8:9], -v[6:7]
	;; [unrolled: 2-line block ×4, first 2 shown]
	v_add_f64 v[32:33], v[20:21], -v[16:17]
	v_add_f64 v[16:17], v[16:17], v[20:21]
	v_add_f64 v[14:15], v[18:19], v[22:23]
	v_add_f64 v[18:19], v[22:23], -v[18:19]
	v_add_f64 v[0:1], v[26:27], v[24:25]
	v_add_f64 v[38:39], v[6:7], -v[4:5]
	;; [unrolled: 2-line block ×3, first 2 shown]
	v_add_f64 v[8:9], v[32:33], -v[12:13]
	v_add_f64 v[22:23], v[28:29], -v[16:17]
	;; [unrolled: 1-line block ×4, first 2 shown]
	v_add_f64 v[12:13], v[32:33], v[12:13]
	v_add_f64 v[24:25], v[26:27], -v[24:25]
	v_add_f64 v[28:29], v[30:31], -v[28:29]
	v_add_f64 v[36:37], v[14:15], v[0:1]
	v_add_f64 v[14:15], v[14:15], -v[26:27]
	v_add_f64 v[0:1], v[18:19], -v[6:7]
	v_add_f64 v[6:7], v[18:19], v[6:7]
	v_add_f64 v[40:41], v[16:17], v[2:3]
	v_add_f64 v[16:17], v[16:17], -v[30:31]
	v_mul_f64 v[8:9], v[8:9], s[18:19]
	v_mul_f64 v[22:23], v[22:23], s[12:13]
	;; [unrolled: 1-line block ×4, first 2 shown]
	v_add_f64 v[18:19], v[4:5], -v[18:19]
	v_mul_f64 v[46:47], v[38:39], s[6:7]
	v_add_f64 v[10:11], v[12:13], v[10:11]
	v_add_f64 v[2:3], v[54:55], v[36:37]
	v_mul_f64 v[26:27], v[14:15], s[4:5]
	v_mul_f64 v[44:45], v[0:1], s[18:19]
	v_add_f64 v[4:5], v[6:7], v[4:5]
	v_add_f64 v[0:1], v[52:53], v[40:41]
	v_mul_f64 v[30:31], v[16:17], s[4:5]
	v_fma_f64 v[6:7], v[42:43], s[22:23], v[8:9]
	v_fma_f64 v[8:9], v[34:35], s[6:7], -v[8:9]
	v_fma_f64 v[12:13], v[14:15], s[4:5], v[20:21]
	v_fma_f64 v[14:15], v[16:17], s[4:5], v[22:23]
	v_fma_f64 v[16:17], v[42:43], s[24:25], -v[32:33]
	v_fma_f64 v[20:21], v[24:25], s[20:21], -v[20:21]
	;; [unrolled: 1-line block ×3, first 2 shown]
	v_fma_f64 v[32:33], v[36:37], s[14:15], v[2:3]
	v_fma_f64 v[24:25], v[24:25], s[16:17], -v[26:27]
	v_fma_f64 v[26:27], v[18:19], s[22:23], v[44:45]
	v_fma_f64 v[18:19], v[18:19], s[24:25], -v[46:47]
	v_fma_f64 v[34:35], v[38:39], s[6:7], -v[44:45]
	v_fma_f64 v[36:37], v[40:41], s[14:15], v[0:1]
	v_fma_f64 v[28:29], v[28:29], s[16:17], -v[30:31]
	v_fma_f64 v[30:31], v[10:11], s[26:27], v[6:7]
	v_fma_f64 v[8:9], v[10:11], s[26:27], v[8:9]
	v_fma_f64 v[16:17], v[10:11], s[26:27], v[16:17]
	v_add_f64 v[12:13], v[12:13], v[32:33]
	v_add_f64 v[20:21], v[20:21], v[32:33]
	;; [unrolled: 1-line block ×3, first 2 shown]
	v_fma_f64 v[32:33], v[4:5], s[26:27], v[26:27]
	v_fma_f64 v[38:39], v[4:5], s[26:27], v[18:19]
	;; [unrolled: 1-line block ×3, first 2 shown]
	v_add_f64 v[34:35], v[14:15], v[36:37]
	v_add_f64 v[40:41], v[22:23], v[36:37]
	;; [unrolled: 1-line block ×3, first 2 shown]
	v_add_f64 v[26:27], v[12:13], -v[30:31]
	v_add_f64 v[10:11], v[16:17], v[20:21]
	v_add_f64 v[14:15], v[24:25], -v[8:9]
	v_add_f64 v[18:19], v[8:9], v[24:25]
	;; [unrolled: 2-line block ×3, first 2 shown]
	v_add_f64 v[24:25], v[32:33], v[34:35]
	v_add_f64 v[20:21], v[38:39], v[40:41]
	v_add_f64 v[16:17], v[28:29], -v[4:5]
	v_add_f64 v[12:13], v[4:5], v[28:29]
	v_add_f64 v[8:9], v[40:41], -v[38:39]
	v_add_f64 v[4:5], v[34:35], -v[32:33]
	ds_write_b128 v176, v[0:3] offset:2016
	ds_write_b128 v176, v[24:27] offset:4896
	;; [unrolled: 1-line block ×7, first 2 shown]
.LBB0_25:
	s_or_b32 exec_lo, exec_lo, s1
	s_waitcnt lgkmcnt(0)
	s_barrier
	buffer_gl0_inv
	ds_read_b128 v[0:3], v176
	ds_read_b128 v[4:7], v176 offset:10080
	ds_read_b128 v[8:11], v176 offset:1008
	s_clause 0x1
	buffer_load_dword v12, off, s[36:39], 0
	buffer_load_dword v13, off, s[36:39], 0 offset:4
	v_mad_u64_u32 v[34:35], null, s8, v177, 0
	s_mov_b32 s0, 0x1a01a01a
	s_mov_b32 s1, 0x3f4a01a0
	s_mul_i32 s5, s9, 0x2760
	s_mul_hi_u32 s6, s8, 0x2760
	s_mul_i32 s4, s8, 0x2760
	s_add_i32 s5, s6, s5
	s_waitcnt vmcnt(1)
	v_mov_b32_e32 v25, v12
	s_waitcnt vmcnt(0)
	ds_read_b128 v[12:15], v176 offset:11088
	s_clause 0x7
	buffer_load_dword v54, off, s[36:39], 0 offset:8
	buffer_load_dword v55, off, s[36:39], 0 offset:12
	;; [unrolled: 1-line block ×8, first 2 shown]
	v_mad_u64_u32 v[32:33], null, s10, v25, 0
	v_mov_b32_e32 v24, v33
	v_mov_b32_e32 v33, v35
	v_mad_u64_u32 v[46:47], null, s11, v25, v[24:25]
	v_mad_u64_u32 v[49:50], null, s9, v177, v[33:34]
	v_mov_b32_e32 v33, v46
	v_mov_b32_e32 v35, v49
	v_lshlrev_b64 v[32:33], 4, v[32:33]
	v_lshlrev_b64 v[34:35], 4, v[34:35]
	v_add_co_u32 v32, vcc_lo, s2, v32
	v_add_co_ci_u32_e32 v33, vcc_lo, s3, v33, vcc_lo
	s_mul_hi_u32 s2, s8, 0xffffdc90
	v_add_co_u32 v46, vcc_lo, v32, v34
	s_mul_i32 s3, s9, 0xffffdc90
	s_sub_i32 s2, s2, s8
	s_add_i32 s2, s2, s3
	s_mul_i32 s3, s8, 0xffffdc90
	s_waitcnt vmcnt(4) lgkmcnt(3)
	v_mul_f64 v[36:37], v[56:57], v[2:3]
	v_mul_f64 v[38:39], v[56:57], v[0:1]
	s_clause 0x3
	buffer_load_dword v56, off, s[36:39], 0 offset:56
	buffer_load_dword v57, off, s[36:39], 0 offset:60
	;; [unrolled: 1-line block ×4, first 2 shown]
	ds_read_b128 v[16:19], v176 offset:2016
	ds_read_b128 v[20:23], v176 offset:3024
	;; [unrolled: 1-line block ×4, first 2 shown]
	s_clause 0x3
	buffer_load_dword v66, off, s[36:39], 0 offset:296
	buffer_load_dword v67, off, s[36:39], 0 offset:300
	;; [unrolled: 1-line block ×4, first 2 shown]
	s_waitcnt vmcnt(8) lgkmcnt(6)
	v_mul_f64 v[40:41], v[62:63], v[6:7]
	v_mul_f64 v[42:43], v[62:63], v[4:5]
	v_fma_f64 v[0:1], v[54:55], v[0:1], v[36:37]
	v_fma_f64 v[2:3], v[54:55], v[2:3], -v[38:39]
	v_fma_f64 v[4:5], v[60:61], v[4:5], v[40:41]
	v_fma_f64 v[6:7], v[60:61], v[6:7], -v[42:43]
	v_mul_f64 v[0:1], v[0:1], s[0:1]
	v_mul_f64 v[2:3], v[2:3], s[0:1]
	;; [unrolled: 1-line block ×4, first 2 shown]
	s_waitcnt vmcnt(4) lgkmcnt(5)
	v_mul_f64 v[44:45], v[58:59], v[10:11]
	v_mul_f64 v[47:48], v[58:59], v[8:9]
	s_clause 0x3
	buffer_load_dword v58, off, s[36:39], 0 offset:40
	buffer_load_dword v59, off, s[36:39], 0 offset:44
	;; [unrolled: 1-line block ×4, first 2 shown]
	s_waitcnt vmcnt(4) lgkmcnt(4)
	v_mul_f64 v[50:51], v[68:69], v[14:15]
	v_mul_f64 v[52:53], v[68:69], v[12:13]
	s_clause 0x3
	buffer_load_dword v62, off, s[36:39], 0 offset:280
	buffer_load_dword v63, off, s[36:39], 0 offset:284
	;; [unrolled: 1-line block ×4, first 2 shown]
	v_fma_f64 v[8:9], v[56:57], v[8:9], v[44:45]
	v_fma_f64 v[10:11], v[56:57], v[10:11], -v[47:48]
	v_add_co_ci_u32_e32 v47, vcc_lo, v33, v35, vcc_lo
	v_fma_f64 v[36:37], v[66:67], v[12:13], v[50:51]
	v_fma_f64 v[38:39], v[66:67], v[14:15], -v[52:53]
	ds_read_b128 v[12:15], v176 offset:4032
	ds_read_b128 v[32:35], v176 offset:14112
	s_clause 0x3
	buffer_load_dword v79, off, s[36:39], 0 offset:200
	buffer_load_dword v80, off, s[36:39], 0 offset:204
	;; [unrolled: 1-line block ×4, first 2 shown]
	v_add_co_u32 v48, vcc_lo, v46, s4
	v_add_co_ci_u32_e32 v49, vcc_lo, s5, v47, vcc_lo
	v_add_co_u32 v52, vcc_lo, v48, s3
	v_add_co_ci_u32_e32 v53, vcc_lo, s2, v49, vcc_lo
	;; [unrolled: 2-line block ×3, first 2 shown]
	v_mul_f64 v[8:9], v[8:9], s[0:1]
	v_mul_f64 v[10:11], v[10:11], s[0:1]
	;; [unrolled: 1-line block ×4, first 2 shown]
	s_waitcnt vmcnt(8) lgkmcnt(5)
	v_mul_f64 v[40:41], v[60:61], v[18:19]
	v_mul_f64 v[42:43], v[60:61], v[16:17]
	s_waitcnt vmcnt(4) lgkmcnt(3)
	v_mul_f64 v[44:45], v[64:65], v[26:27]
	v_mul_f64 v[50:51], v[64:65], v[24:25]
	v_fma_f64 v[40:41], v[58:59], v[16:17], v[40:41]
	v_fma_f64 v[42:43], v[58:59], v[18:19], -v[42:43]
	v_fma_f64 v[44:45], v[62:63], v[24:25], v[44:45]
	v_fma_f64 v[50:51], v[62:63], v[26:27], -v[50:51]
	s_waitcnt vmcnt(0)
	v_mul_f64 v[54:55], v[81:82], v[22:23]
	v_mul_f64 v[56:57], v[81:82], v[20:21]
	s_clause 0x3
	buffer_load_dword v81, off, s[36:39], 0 offset:216
	buffer_load_dword v82, off, s[36:39], 0 offset:220
	;; [unrolled: 1-line block ×4, first 2 shown]
	ds_read_b128 v[16:19], v176 offset:5040
	s_clause 0x3
	buffer_load_dword v73, off, s[36:39], 0 offset:168
	buffer_load_dword v74, off, s[36:39], 0 offset:172
	;; [unrolled: 1-line block ×4, first 2 shown]
	ds_read_b128 v[24:27], v176 offset:15120
	s_waitcnt vmcnt(4) lgkmcnt(4)
	v_mul_f64 v[58:59], v[83:84], v[30:31]
	v_mul_f64 v[60:61], v[83:84], v[28:29]
	s_waitcnt vmcnt(0) lgkmcnt(3)
	v_mul_f64 v[62:63], v[75:76], v[14:15]
	v_mul_f64 v[64:65], v[75:76], v[12:13]
	s_clause 0x3
	buffer_load_dword v75, off, s[36:39], 0 offset:184
	buffer_load_dword v76, off, s[36:39], 0 offset:188
	;; [unrolled: 1-line block ×4, first 2 shown]
	global_store_dwordx4 v[46:47], v[0:3], off
	global_store_dwordx4 v[48:49], v[4:7], off
	;; [unrolled: 1-line block ×4, first 2 shown]
	v_fma_f64 v[8:9], v[79:80], v[20:21], v[54:55]
	s_clause 0x3
	buffer_load_dword v52, off, s[36:39], 0 offset:120
	buffer_load_dword v53, off, s[36:39], 0 offset:124
	;; [unrolled: 1-line block ×4, first 2 shown]
	v_mul_f64 v[0:1], v[40:41], s[0:1]
	v_mul_f64 v[2:3], v[42:43], s[0:1]
	v_fma_f64 v[10:11], v[79:80], v[22:23], -v[56:57]
	v_add_co_u32 v36, vcc_lo, v70, s3
	v_add_co_ci_u32_e32 v37, vcc_lo, s2, v71, vcc_lo
	v_mul_f64 v[4:5], v[44:45], s[0:1]
	v_add_co_u32 v42, vcc_lo, v36, s4
	v_add_co_ci_u32_e32 v43, vcc_lo, s5, v37, vcc_lo
	v_mul_f64 v[6:7], v[50:51], s[0:1]
	v_add_co_u32 v44, vcc_lo, v42, s3
	v_fma_f64 v[20:21], v[81:82], v[28:29], v[58:59]
	v_fma_f64 v[22:23], v[81:82], v[30:31], -v[60:61]
	v_fma_f64 v[28:29], v[73:74], v[12:13], v[62:63]
	v_fma_f64 v[30:31], v[73:74], v[14:15], -v[64:65]
	v_add_co_ci_u32_e32 v45, vcc_lo, s2, v43, vcc_lo
	v_mul_f64 v[8:9], v[8:9], s[0:1]
	v_add_co_u32 v50, vcc_lo, v44, s4
	v_mul_f64 v[10:11], v[10:11], s[0:1]
	v_add_co_ci_u32_e32 v51, vcc_lo, s5, v45, vcc_lo
	v_mul_f64 v[12:13], v[20:21], s[0:1]
	v_mul_f64 v[14:15], v[22:23], s[0:1]
	;; [unrolled: 1-line block ×4, first 2 shown]
	s_waitcnt vmcnt(4) lgkmcnt(2)
	v_mul_f64 v[66:67], v[77:78], v[34:35]
	v_mul_f64 v[68:69], v[77:78], v[32:33]
	s_waitcnt vmcnt(0) lgkmcnt(1)
	v_mul_f64 v[38:39], v[54:55], v[18:19]
	v_mul_f64 v[40:41], v[54:55], v[16:17]
	s_clause 0x3
	buffer_load_dword v54, off, s[36:39], 0 offset:152
	buffer_load_dword v55, off, s[36:39], 0 offset:156
	;; [unrolled: 1-line block ×4, first 2 shown]
	global_store_dwordx4 v[36:37], v[0:3], off
	ds_read_b128 v[20:23], v176 offset:6048
	ds_read_b128 v[0:3], v176 offset:7056
	v_fma_f64 v[32:33], v[75:76], v[32:33], v[66:67]
	v_fma_f64 v[34:35], v[75:76], v[34:35], -v[68:69]
	v_fma_f64 v[38:39], v[52:53], v[16:17], v[38:39]
	v_fma_f64 v[40:41], v[52:53], v[18:19], -v[40:41]
	ds_read_b128 v[16:19], v176 offset:16128
	s_clause 0x3
	buffer_load_dword v58, off, s[36:39], 0 offset:24
	buffer_load_dword v59, off, s[36:39], 0 offset:28
	;; [unrolled: 1-line block ×4, first 2 shown]
	v_add_co_u32 v52, vcc_lo, v50, s3
	v_add_co_ci_u32_e32 v53, vcc_lo, s2, v51, vcc_lo
	v_add_co_u32 v36, vcc_lo, v52, s4
	v_add_co_ci_u32_e32 v37, vcc_lo, s5, v53, vcc_lo
	v_mul_f64 v[32:33], v[32:33], s[0:1]
	v_mul_f64 v[34:35], v[34:35], s[0:1]
	global_store_dwordx4 v[42:43], v[4:7], off
	global_store_dwordx4 v[44:45], v[8:11], off
	;; [unrolled: 1-line block ×5, first 2 shown]
	v_add_co_u32 v44, vcc_lo, v36, s3
	v_mul_f64 v[4:5], v[38:39], s[0:1]
	ds_read_b128 v[8:11], v176 offset:17136
	v_add_co_ci_u32_e32 v45, vcc_lo, s2, v37, vcc_lo
	v_mul_f64 v[6:7], v[40:41], s[0:1]
	v_add_co_u32 v50, vcc_lo, v44, s4
	v_add_co_ci_u32_e32 v51, vcc_lo, s5, v45, vcc_lo
	s_waitcnt vmcnt(4) lgkmcnt(4)
	v_mul_f64 v[46:47], v[56:57], v[26:27]
	v_mul_f64 v[48:49], v[56:57], v[24:25]
	v_fma_f64 v[46:47], v[54:55], v[24:25], v[46:47]
	v_fma_f64 v[48:49], v[54:55], v[26:27], -v[48:49]
	s_waitcnt vmcnt(0) lgkmcnt(3)
	v_mul_f64 v[54:55], v[60:61], v[22:23]
	v_mul_f64 v[56:57], v[60:61], v[20:21]
	s_clause 0x3
	buffer_load_dword v60, off, s[36:39], 0 offset:72
	buffer_load_dword v61, off, s[36:39], 0 offset:76
	;; [unrolled: 1-line block ×4, first 2 shown]
	ds_read_b128 v[12:15], v176 offset:8064
	ds_read_b128 v[24:27], v176 offset:18144
	;; [unrolled: 1-line block ×4, first 2 shown]
	s_clause 0xb
	buffer_load_dword v76, off, s[36:39], 0 offset:136
	buffer_load_dword v77, off, s[36:39], 0 offset:140
	;; [unrolled: 1-line block ×12, first 2 shown]
	v_mul_f64 v[32:33], v[46:47], s[0:1]
	v_mul_f64 v[34:35], v[48:49], s[0:1]
	v_fma_f64 v[20:21], v[58:59], v[20:21], v[54:55]
	v_fma_f64 v[22:23], v[58:59], v[22:23], -v[56:57]
	s_waitcnt vmcnt(12) lgkmcnt(5)
	v_mul_f64 v[40:41], v[62:63], v[18:19]
	v_mul_f64 v[42:43], v[62:63], v[16:17]
	s_waitcnt vmcnt(8)
	v_mul_f64 v[46:47], v[78:79], v[2:3]
	v_mul_f64 v[48:49], v[78:79], v[0:1]
	s_clause 0x3
	buffer_load_dword v78, off, s[36:39], 0 offset:232
	buffer_load_dword v79, off, s[36:39], 0 offset:236
	;; [unrolled: 1-line block ×4, first 2 shown]
	s_waitcnt vmcnt(8) lgkmcnt(4)
	v_mul_f64 v[52:53], v[74:75], v[10:11]
	v_mul_f64 v[54:55], v[74:75], v[8:9]
	v_fma_f64 v[16:17], v[60:61], v[16:17], v[40:41]
	v_fma_f64 v[18:19], v[60:61], v[18:19], -v[42:43]
	s_waitcnt vmcnt(4) lgkmcnt(3)
	v_mul_f64 v[40:41], v[70:71], v[14:15]
	v_mul_f64 v[42:43], v[70:71], v[12:13]
	s_waitcnt vmcnt(0) lgkmcnt(2)
	v_mul_f64 v[56:57], v[80:81], v[26:27]
	v_mul_f64 v[58:59], v[80:81], v[24:25]
	s_clause 0x3
	buffer_load_dword v80, off, s[36:39], 0 offset:248
	buffer_load_dword v81, off, s[36:39], 0 offset:252
	;; [unrolled: 1-line block ×4, first 2 shown]
	v_fma_f64 v[24:25], v[78:79], v[24:25], v[56:57]
	v_fma_f64 v[26:27], v[78:79], v[26:27], -v[58:59]
	s_waitcnt vmcnt(0) lgkmcnt(1)
	v_mul_f64 v[60:61], v[82:83], v[30:31]
	v_mul_f64 v[62:63], v[82:83], v[28:29]
	s_clause 0x3
	buffer_load_dword v82, off, s[36:39], 0 offset:264
	buffer_load_dword v83, off, s[36:39], 0 offset:268
	;; [unrolled: 1-line block ×4, first 2 shown]
	global_store_dwordx4 v[44:45], v[4:7], off
	global_store_dwordx4 v[50:51], v[32:35], off
	v_fma_f64 v[34:35], v[72:73], v[8:9], v[52:53]
	v_mul_f64 v[4:5], v[20:21], s[0:1]
	v_mul_f64 v[6:7], v[22:23], s[0:1]
	v_fma_f64 v[20:21], v[76:77], v[0:1], v[46:47]
	v_fma_f64 v[22:23], v[76:77], v[2:3], -v[48:49]
	v_fma_f64 v[44:45], v[72:73], v[10:11], -v[54:55]
	v_mul_f64 v[0:1], v[16:17], s[0:1]
	v_mul_f64 v[2:3], v[18:19], s[0:1]
	v_fma_f64 v[16:17], v[68:69], v[12:13], v[40:41]
	v_fma_f64 v[18:19], v[68:69], v[14:15], -v[42:43]
	v_add_co_u32 v32, vcc_lo, v50, s3
	v_add_co_ci_u32_e32 v33, vcc_lo, s2, v51, vcc_lo
	v_add_co_u32 v40, vcc_lo, v32, s4
	v_add_co_ci_u32_e32 v41, vcc_lo, s5, v33, vcc_lo
	v_fma_f64 v[28:29], v[80:81], v[28:29], v[60:61]
	v_fma_f64 v[30:31], v[80:81], v[30:31], -v[62:63]
	v_add_co_u32 v42, vcc_lo, v40, s3
	v_add_co_ci_u32_e32 v43, vcc_lo, s2, v41, vcc_lo
	v_mul_f64 v[12:13], v[34:35], s[0:1]
	v_add_co_u32 v34, vcc_lo, v42, s4
	v_mul_f64 v[8:9], v[20:21], s[0:1]
	v_mul_f64 v[10:11], v[22:23], s[0:1]
	;; [unrolled: 1-line block ×3, first 2 shown]
	v_add_co_ci_u32_e32 v35, vcc_lo, s5, v43, vcc_lo
	v_mul_f64 v[16:17], v[16:17], s[0:1]
	v_mul_f64 v[18:19], v[18:19], s[0:1]
	;; [unrolled: 1-line block ×4, first 2 shown]
	global_store_dwordx4 v[32:33], v[4:7], off
	global_store_dwordx4 v[40:41], v[0:3], off
	v_mul_f64 v[24:25], v[28:29], s[0:1]
	v_mul_f64 v[26:27], v[30:31], s[0:1]
	global_store_dwordx4 v[42:43], v[8:11], off
	s_waitcnt vmcnt(0) lgkmcnt(0)
	v_mul_f64 v[64:65], v[84:85], v[38:39]
	v_mul_f64 v[66:67], v[84:85], v[36:37]
	v_fma_f64 v[36:37], v[82:83], v[36:37], v[64:65]
	v_fma_f64 v[38:39], v[82:83], v[38:39], -v[66:67]
	v_mul_f64 v[28:29], v[36:37], s[0:1]
	v_mul_f64 v[30:31], v[38:39], s[0:1]
	v_add_co_u32 v36, vcc_lo, v34, s3
	v_add_co_ci_u32_e32 v37, vcc_lo, s2, v35, vcc_lo
	v_add_co_u32 v4, vcc_lo, v36, s4
	v_add_co_ci_u32_e32 v5, vcc_lo, s5, v37, vcc_lo
	;; [unrolled: 2-line block ×4, first 2 shown]
	global_store_dwordx4 v[34:35], v[12:15], off
	global_store_dwordx4 v[36:37], v[16:19], off
	;; [unrolled: 1-line block ×5, first 2 shown]
.LBB0_26:
	s_endpgm
	.section	.rodata,"a",@progbits
	.p2align	6, 0x0
	.amdhsa_kernel bluestein_single_fwd_len1260_dim1_dp_op_CI_CI
		.amdhsa_group_segment_fixed_size 20160
		.amdhsa_private_segment_fixed_size 996
		.amdhsa_kernarg_size 104
		.amdhsa_user_sgpr_count 6
		.amdhsa_user_sgpr_private_segment_buffer 1
		.amdhsa_user_sgpr_dispatch_ptr 0
		.amdhsa_user_sgpr_queue_ptr 0
		.amdhsa_user_sgpr_kernarg_segment_ptr 1
		.amdhsa_user_sgpr_dispatch_id 0
		.amdhsa_user_sgpr_flat_scratch_init 0
		.amdhsa_user_sgpr_private_segment_size 0
		.amdhsa_wavefront_size32 1
		.amdhsa_uses_dynamic_stack 0
		.amdhsa_system_sgpr_private_segment_wavefront_offset 1
		.amdhsa_system_sgpr_workgroup_id_x 1
		.amdhsa_system_sgpr_workgroup_id_y 0
		.amdhsa_system_sgpr_workgroup_id_z 0
		.amdhsa_system_sgpr_workgroup_info 0
		.amdhsa_system_vgpr_workitem_id 0
		.amdhsa_next_free_vgpr 256
		.amdhsa_next_free_sgpr 40
		.amdhsa_reserve_vcc 1
		.amdhsa_reserve_flat_scratch 0
		.amdhsa_float_round_mode_32 0
		.amdhsa_float_round_mode_16_64 0
		.amdhsa_float_denorm_mode_32 3
		.amdhsa_float_denorm_mode_16_64 3
		.amdhsa_dx10_clamp 1
		.amdhsa_ieee_mode 1
		.amdhsa_fp16_overflow 0
		.amdhsa_workgroup_processor_mode 1
		.amdhsa_memory_ordered 1
		.amdhsa_forward_progress 0
		.amdhsa_shared_vgpr_count 0
		.amdhsa_exception_fp_ieee_invalid_op 0
		.amdhsa_exception_fp_denorm_src 0
		.amdhsa_exception_fp_ieee_div_zero 0
		.amdhsa_exception_fp_ieee_overflow 0
		.amdhsa_exception_fp_ieee_underflow 0
		.amdhsa_exception_fp_ieee_inexact 0
		.amdhsa_exception_int_div_zero 0
	.end_amdhsa_kernel
	.text
.Lfunc_end0:
	.size	bluestein_single_fwd_len1260_dim1_dp_op_CI_CI, .Lfunc_end0-bluestein_single_fwd_len1260_dim1_dp_op_CI_CI
                                        ; -- End function
	.section	.AMDGPU.csdata,"",@progbits
; Kernel info:
; codeLenInByte = 33836
; NumSgprs: 42
; NumVgprs: 256
; ScratchSize: 996
; MemoryBound: 0
; FloatMode: 240
; IeeeMode: 1
; LDSByteSize: 20160 bytes/workgroup (compile time only)
; SGPRBlocks: 5
; VGPRBlocks: 31
; NumSGPRsForWavesPerEU: 42
; NumVGPRsForWavesPerEU: 256
; Occupancy: 3
; WaveLimiterHint : 1
; COMPUTE_PGM_RSRC2:SCRATCH_EN: 1
; COMPUTE_PGM_RSRC2:USER_SGPR: 6
; COMPUTE_PGM_RSRC2:TRAP_HANDLER: 0
; COMPUTE_PGM_RSRC2:TGID_X_EN: 1
; COMPUTE_PGM_RSRC2:TGID_Y_EN: 0
; COMPUTE_PGM_RSRC2:TGID_Z_EN: 0
; COMPUTE_PGM_RSRC2:TIDIG_COMP_CNT: 0
	.text
	.p2alignl 6, 3214868480
	.fill 48, 4, 3214868480
	.type	__hip_cuid_6e7ad96a34def86b,@object ; @__hip_cuid_6e7ad96a34def86b
	.section	.bss,"aw",@nobits
	.globl	__hip_cuid_6e7ad96a34def86b
__hip_cuid_6e7ad96a34def86b:
	.byte	0                               ; 0x0
	.size	__hip_cuid_6e7ad96a34def86b, 1

	.ident	"AMD clang version 19.0.0git (https://github.com/RadeonOpenCompute/llvm-project roc-6.4.0 25133 c7fe45cf4b819c5991fe208aaa96edf142730f1d)"
	.section	".note.GNU-stack","",@progbits
	.addrsig
	.addrsig_sym __hip_cuid_6e7ad96a34def86b
	.amdgpu_metadata
---
amdhsa.kernels:
  - .args:
      - .actual_access:  read_only
        .address_space:  global
        .offset:         0
        .size:           8
        .value_kind:     global_buffer
      - .actual_access:  read_only
        .address_space:  global
        .offset:         8
        .size:           8
        .value_kind:     global_buffer
      - .actual_access:  read_only
        .address_space:  global
        .offset:         16
        .size:           8
        .value_kind:     global_buffer
      - .actual_access:  read_only
        .address_space:  global
        .offset:         24
        .size:           8
        .value_kind:     global_buffer
      - .actual_access:  read_only
        .address_space:  global
        .offset:         32
        .size:           8
        .value_kind:     global_buffer
      - .offset:         40
        .size:           8
        .value_kind:     by_value
      - .address_space:  global
        .offset:         48
        .size:           8
        .value_kind:     global_buffer
      - .address_space:  global
        .offset:         56
        .size:           8
        .value_kind:     global_buffer
      - .address_space:  global
        .offset:         64
        .size:           8
        .value_kind:     global_buffer
      - .address_space:  global
        .offset:         72
        .size:           8
        .value_kind:     global_buffer
      - .offset:         80
        .size:           4
        .value_kind:     by_value
      - .address_space:  global
        .offset:         88
        .size:           8
        .value_kind:     global_buffer
      - .address_space:  global
        .offset:         96
        .size:           8
        .value_kind:     global_buffer
    .group_segment_fixed_size: 20160
    .kernarg_segment_align: 8
    .kernarg_segment_size: 104
    .language:       OpenCL C
    .language_version:
      - 2
      - 0
    .max_flat_workgroup_size: 63
    .name:           bluestein_single_fwd_len1260_dim1_dp_op_CI_CI
    .private_segment_fixed_size: 996
    .sgpr_count:     42
    .sgpr_spill_count: 0
    .symbol:         bluestein_single_fwd_len1260_dim1_dp_op_CI_CI.kd
    .uniform_work_group_size: 1
    .uses_dynamic_stack: false
    .vgpr_count:     256
    .vgpr_spill_count: 248
    .wavefront_size: 32
    .workgroup_processor_mode: 1
amdhsa.target:   amdgcn-amd-amdhsa--gfx1030
amdhsa.version:
  - 1
  - 2
...

	.end_amdgpu_metadata
